;; amdgpu-corpus repo=pytorch/pytorch kind=compiled arch=gfx1250 opt=O3
	.amdgcn_target "amdgcn-amd-amdhsa--gfx1250"
	.amdhsa_code_object_version 6
	.section	.text._ZN2at6native19tril_indices_kernelIiEEvPT_lllll,"axG",@progbits,_ZN2at6native19tril_indices_kernelIiEEvPT_lllll,comdat
	.protected	_ZN2at6native19tril_indices_kernelIiEEvPT_lllll ; -- Begin function _ZN2at6native19tril_indices_kernelIiEEvPT_lllll
	.globl	_ZN2at6native19tril_indices_kernelIiEEvPT_lllll
	.p2align	8
	.type	_ZN2at6native19tril_indices_kernelIiEEvPT_lllll,@function
_ZN2at6native19tril_indices_kernelIiEEvPT_lllll: ; @_ZN2at6native19tril_indices_kernelIiEEvPT_lllll
; %bb.0:
	s_clause 0x1
	s_load_b32 s2, s[0:1], 0x3c
	s_load_b128 s[12:15], s[0:1], 0x20
	s_bfe_u32 s3, ttmp6, 0x4000c
	s_and_b32 s4, ttmp6, 15
	s_add_co_i32 s3, s3, 1
	s_getreg_b32 s5, hwreg(HW_REG_IB_STS2, 6, 4)
	s_mul_i32 s3, ttmp9, s3
	v_mov_b32_e32 v1, 0
	s_add_co_i32 s4, s4, s3
	s_wait_kmcnt 0x0
	s_and_b32 s2, s2, 0xffff
	s_cmp_eq_u32 s5, 0
	s_cselect_b32 s3, ttmp9, s4
	s_delay_alu instid0(SALU_CYCLE_1) | instskip(SKIP_1) | instid1(VALU_DEP_1)
	v_mad_nc_u64_u32 v[0:1], s2, s3, v[0:1]
	s_mov_b32 s2, exec_lo
	v_cmpx_gt_i64_e64 s[14:15], v[0:1]
	s_cbranch_execz .LBB0_16
; %bb.1:
	s_load_b256 s[4:11], s[0:1], 0x0
                                        ; implicit-def: $vgpr2_vgpr3
                                        ; implicit-def: $vgpr4_vgpr5
	s_wait_xcnt 0x0
	s_mov_b32 s0, exec_lo
	v_cmpx_le_i64_e64 s[12:13], v[0:1]
	s_xor_b32 s1, exec_lo, s0
	s_cbranch_execz .LBB0_7
; %bb.2:
	v_sub_nc_u64_e64 v[2:3], v[0:1], s[12:13]
                                        ; implicit-def: $vgpr6_vgpr7
	s_mov_b32 s0, exec_lo
	s_wait_kmcnt 0x0
	s_delay_alu instid0(VALU_DEP_1) | instskip(NEXT) | instid1(VALU_DEP_1)
	v_dual_mov_b32 v4, 0 :: v_dual_bitop2_b32 v5, s11, v3 bitop3:0x54
	v_cmpx_ne_u64_e32 0, v[4:5]
	s_xor_b32 s7, exec_lo, s0
	s_cbranch_execz .LBB0_4
; %bb.3:
	s_ashr_i32 s2, s11, 31
	s_mov_b32 s23, 0
	s_mov_b32 s3, s2
	v_dual_mov_b32 v11, v4 :: v_dual_ashrrev_i32 v6, 31, v3
	s_add_nc_u64 s[12:13], s[10:11], s[2:3]
	v_dual_mov_b32 v19, v4 :: v_dual_mov_b32 v5, v4
	s_xor_b64 s[12:13], s[12:13], s[2:3]
	s_delay_alu instid0(VALU_DEP_2) | instskip(SKIP_3) | instid1(VALU_DEP_1)
	v_mov_b32_e32 v7, v6
	s_cvt_f32_u32 s0, s12
	s_cvt_f32_u32 s3, s13
	s_sub_nc_u64 s[18:19], 0, s[12:13]
	v_add_nc_u64_e32 v[8:9], v[2:3], v[6:7]
	s_delay_alu instid0(SALU_CYCLE_1) | instskip(SKIP_1) | instid1(SALU_CYCLE_2)
	s_fmamk_f32 s0, s3, 0x4f800000, s0
	v_mov_b32_e32 v13, v4
	v_s_rcp_f32 s0, s0
	s_delay_alu instid0(VALU_DEP_2) | instskip(NEXT) | instid1(VALU_DEP_3)
	v_xor_b32_e32 v10, v8, v6
	v_xor_b32_e32 v12, v9, v6
	;; [unrolled: 1-line block ×3, first 2 shown]
	s_delay_alu instid0(TRANS32_DEP_1) | instskip(NEXT) | instid1(SALU_CYCLE_3)
	s_mul_f32 s0, s0, 0x5f7ffffc
	s_mul_f32 s3, s0, 0x2f800000
	s_delay_alu instid0(SALU_CYCLE_3) | instskip(NEXT) | instid1(SALU_CYCLE_3)
	s_trunc_f32 s3, s3
	s_fmamk_f32 s0, s3, 0xcf800000, s0
	s_cvt_u32_f32 s17, s3
	s_delay_alu instid0(SALU_CYCLE_2) | instskip(NEXT) | instid1(SALU_CYCLE_3)
	s_cvt_u32_f32 s16, s0
	s_mul_u64 s[20:21], s[18:19], s[16:17]
	s_delay_alu instid0(SALU_CYCLE_1)
	s_mul_hi_u32 s25, s16, s21
	s_mul_i32 s24, s16, s21
	s_mul_hi_u32 s22, s16, s20
	s_mul_i32 s3, s17, s20
	s_add_nc_u64 s[24:25], s[22:23], s[24:25]
	s_mul_hi_u32 s0, s17, s20
	s_mul_hi_u32 s26, s17, s21
	s_add_co_u32 s3, s24, s3
	s_add_co_ci_u32 s22, s25, s0
	s_mul_i32 s20, s17, s21
	s_add_co_ci_u32 s21, s26, 0
	s_delay_alu instid0(SALU_CYCLE_1) | instskip(NEXT) | instid1(SALU_CYCLE_1)
	s_add_nc_u64 s[20:21], s[22:23], s[20:21]
	s_add_co_u32 s16, s16, s20
	s_cselect_b32 s0, -1, 0
	s_delay_alu instid0(SALU_CYCLE_1) | instskip(SKIP_1) | instid1(SALU_CYCLE_1)
	s_cmp_lg_u32 s0, 0
	s_add_co_ci_u32 s17, s17, s21
	s_mul_u64 s[18:19], s[18:19], s[16:17]
	s_delay_alu instid0(SALU_CYCLE_1)
	s_mul_hi_u32 s21, s16, s19
	s_mul_i32 s20, s16, s19
	s_mul_hi_u32 s22, s16, s18
	s_mul_i32 s3, s17, s18
	s_add_nc_u64 s[20:21], s[22:23], s[20:21]
	s_mul_hi_u32 s0, s17, s18
	s_mul_hi_u32 s24, s17, s19
	s_add_co_u32 s3, s20, s3
	s_add_co_ci_u32 s22, s21, s0
	s_mul_i32 s18, s17, s19
	s_add_co_ci_u32 s19, s24, 0
	s_delay_alu instid0(SALU_CYCLE_1) | instskip(NEXT) | instid1(SALU_CYCLE_1)
	s_add_nc_u64 s[18:19], s[22:23], s[18:19]
	s_add_co_u32 s0, s16, s18
	s_cselect_b32 s3, -1, 0
	v_mul_hi_u32 v18, v10, s0
	s_cmp_lg_u32 s3, 0
	s_add_co_ci_u32 s22, s17, s19
	s_mov_b64 s[16:17], 0xffffffff
	v_mul_u64_e32 v[14:15], s[22:23], v[10:11]
	s_and_b64 s[16:17], s[0:1], s[16:17]
	v_mul_u64_e32 v[16:17], s[22:23], v[12:13]
	v_mul_u64_e32 v[8:9], s[16:17], v[12:13]
	s_delay_alu instid0(VALU_DEP_3) | instskip(NEXT) | instid1(VALU_DEP_1)
	v_add_nc_u64_e32 v[14:15], v[18:19], v[14:15]
	v_add_co_u32 v4, vcc_lo, v14, v8
	s_delay_alu instid0(VALU_DEP_2) | instskip(SKIP_1) | instid1(VALU_DEP_1)
	v_add_co_ci_u32_e32 v4, vcc_lo, v15, v9, vcc_lo
	v_add_co_ci_u32_e32 v17, vcc_lo, 0, v17, vcc_lo
	v_add_nc_u64_e32 v[4:5], v[4:5], v[16:17]
	s_delay_alu instid0(VALU_DEP_1) | instskip(NEXT) | instid1(VALU_DEP_1)
	v_mul_u64_e32 v[8:9], s[12:13], v[4:5]
	v_sub_nc_u32_e32 v7, v12, v9
	s_delay_alu instid0(VALU_DEP_2) | instskip(NEXT) | instid1(VALU_DEP_1)
	v_sub_co_u32 v8, vcc_lo, v10, v8
	v_sub_co_ci_u32_e64 v12, null, v12, v9, vcc_lo
	s_delay_alu instid0(VALU_DEP_3) | instskip(NEXT) | instid1(VALU_DEP_3)
	v_subrev_co_ci_u32_e64 v7, null, s13, v7, vcc_lo
	v_sub_co_u32 v10, s0, v8, s12
	s_delay_alu instid0(VALU_DEP_1) | instskip(NEXT) | instid1(VALU_DEP_2)
	v_subrev_co_ci_u32_e64 v7, null, 0, v7, s0
	v_cmp_le_u32_e32 vcc_lo, s12, v10
	v_cndmask_b32_e64 v9, 0, -1, vcc_lo
	s_delay_alu instid0(VALU_DEP_3)
	v_cmp_le_u32_e32 vcc_lo, s13, v7
	v_cndmask_b32_e64 v10, 0, -1, vcc_lo
	v_cmp_le_u32_e32 vcc_lo, s12, v8
	v_cndmask_b32_e64 v13, 0, -1, vcc_lo
	;; [unrolled: 2-line block ×3, first 2 shown]
	v_cmp_eq_u32_e32 vcc_lo, s13, v7
	v_cndmask_b32_e32 v7, v10, v9, vcc_lo
	v_cmp_eq_u32_e32 vcc_lo, s13, v12
	v_add_nc_u64_e32 v[8:9], 2, v[4:5]
	v_add_nc_u64_e32 v[10:11], 1, v[4:5]
	v_cndmask_b32_e32 v12, v14, v13, vcc_lo
	v_cmp_ne_u32_e32 vcc_lo, 0, v7
	s_delay_alu instid0(VALU_DEP_2) | instskip(NEXT) | instid1(VALU_DEP_4)
	v_cmp_ne_u32_e64 s0, 0, v12
	v_dual_cndmask_b32 v8, v10, v8 :: v_dual_cndmask_b32 v7, v11, v9
	s_delay_alu instid0(VALU_DEP_1) | instskip(NEXT) | instid1(VALU_DEP_1)
	v_dual_cndmask_b32 v4, v4, v8, s0 :: v_dual_cndmask_b32 v5, v5, v7, s0
	v_dual_mov_b32 v7, v6 :: v_dual_bitop2_b32 v4, v4, v6 bitop3:0x14
	s_delay_alu instid0(VALU_DEP_2) | instskip(NEXT) | instid1(VALU_DEP_1)
	v_xor_b32_e32 v5, v5, v6
	v_sub_nc_u64_e32 v[6:7], v[4:5], v[6:7]
.LBB0_4:
	s_and_not1_saveexec_b32 s0, s7
	s_cbranch_execz .LBB0_6
; %bb.5:
	v_cvt_f32_u32_e32 v4, s10
	s_sub_co_i32 s2, 0, s10
	s_delay_alu instid0(VALU_DEP_1) | instskip(SKIP_1) | instid1(TRANS32_DEP_1)
	v_rcp_iflag_f32_e32 v4, v4
	v_nop
	v_mul_f32_e32 v4, 0x4f7ffffe, v4
	s_delay_alu instid0(VALU_DEP_1) | instskip(NEXT) | instid1(VALU_DEP_1)
	v_cvt_u32_f32_e32 v4, v4
	v_mul_lo_u32 v5, s2, v4
	s_delay_alu instid0(VALU_DEP_1) | instskip(NEXT) | instid1(VALU_DEP_1)
	v_mul_hi_u32 v5, v4, v5
	v_add_nc_u32_e32 v4, v4, v5
	s_delay_alu instid0(VALU_DEP_1) | instskip(NEXT) | instid1(VALU_DEP_1)
	v_mul_hi_u32 v4, v2, v4
	v_mul_lo_u32 v5, v4, s10
	s_delay_alu instid0(VALU_DEP_1) | instskip(NEXT) | instid1(VALU_DEP_1)
	v_dual_add_nc_u32 v6, 1, v4 :: v_dual_sub_nc_u32 v5, v2, v5
	v_subrev_nc_u32_e32 v7, s10, v5
	v_cmp_le_u32_e32 vcc_lo, s10, v5
	s_delay_alu instid0(VALU_DEP_2) | instskip(NEXT) | instid1(VALU_DEP_4)
	v_dual_cndmask_b32 v5, v5, v7, vcc_lo :: v_dual_mov_b32 v7, 0
	v_cndmask_b32_e32 v4, v4, v6, vcc_lo
	s_delay_alu instid0(VALU_DEP_2) | instskip(NEXT) | instid1(VALU_DEP_2)
	v_cmp_le_u32_e32 vcc_lo, s10, v5
	v_add_nc_u32_e32 v6, 1, v4
	s_delay_alu instid0(VALU_DEP_1)
	v_cndmask_b32_e32 v6, v4, v6, vcc_lo
.LBB0_6:
	s_or_b32 exec_lo, exec_lo, s0
	s_delay_alu instid0(VALU_DEP_1) | instskip(SKIP_1) | instid1(SALU_CYCLE_1)
	v_mul_u64_e32 v[8:9], s[10:11], v[6:7]
	s_sub_nc_u64 s[2:3], s[10:11], s[8:9]
	s_add_nc_u64 s[2:3], s[2:3], 1
	s_delay_alu instid0(SALU_CYCLE_1) | instskip(NEXT) | instid1(VALU_DEP_2)
	v_add_nc_u64_e32 v[4:5], s[2:3], v[6:7]
	v_sub_nc_u64_e32 v[2:3], v[2:3], v[8:9]
.LBB0_7:
	s_and_not1_saveexec_b32 s2, s1
	s_cbranch_execz .LBB0_15
; %bb.8:
	v_lshlrev_b64_e32 v[2:3], 3, v[0:1]
	s_wait_kmcnt 0x0
	s_lshl_b64 s[8:9], s[8:9], 1
	s_delay_alu instid0(SALU_CYCLE_1) | instskip(SKIP_4) | instid1(VALU_DEP_1)
	s_add_nc_u64 s[0:1], s[8:9], -1
	s_sub_nc_u64 s[8:9], 1, s[8:9]
	s_mul_i32 s3, s0, s1
	v_cvt_f64_i32_e32 v[12:13], s9
	v_mad_nc_u64_u32 v[2:3], s0, s0, v[2:3]
	v_add3_u32 v3, s3, s3, v3
	s_delay_alu instid0(VALU_DEP_2) | instskip(SKIP_1) | instid1(VALU_DEP_2)
	v_cvt_f64_u32_e32 v[6:7], v2
	s_mov_b32 s3, exec_lo
	v_cvt_f64_i32_e32 v[4:5], v3
	s_delay_alu instid0(VALU_DEP_1) | instskip(NEXT) | instid1(VALU_DEP_1)
	v_ldexp_f64 v[4:5], v[4:5], 32
	v_add_f64_e32 v[4:5], v[4:5], v[6:7]
	s_delay_alu instid0(VALU_DEP_1) | instskip(SKIP_1) | instid1(VALU_DEP_1)
	v_cmp_gt_f64_e32 vcc_lo, 0x10000000, v[4:5]
	v_cndmask_b32_e64 v6, 0, 0x100, vcc_lo
	v_ldexp_f64 v[4:5], v[4:5], v6
	s_delay_alu instid0(VALU_DEP_1) | instskip(SKIP_1) | instid1(TRANS32_DEP_1)
	v_rsq_f64_e32 v[6:7], v[4:5]
	v_nop
	v_mul_f64_e32 v[8:9], v[4:5], v[6:7]
	v_mul_f64_e32 v[6:7], 0.5, v[6:7]
	s_delay_alu instid0(VALU_DEP_1) | instskip(NEXT) | instid1(VALU_DEP_1)
	v_fma_f64 v[10:11], -v[6:7], v[8:9], 0.5
	v_fmac_f64_e32 v[8:9], v[8:9], v[10:11]
	v_fmac_f64_e32 v[6:7], v[6:7], v[10:11]
	s_delay_alu instid0(VALU_DEP_2) | instskip(NEXT) | instid1(VALU_DEP_1)
	v_fma_f64 v[10:11], -v[8:9], v[8:9], v[4:5]
	v_fmac_f64_e32 v[8:9], v[10:11], v[6:7]
	s_delay_alu instid0(VALU_DEP_1) | instskip(NEXT) | instid1(VALU_DEP_1)
	v_fma_f64 v[10:11], -v[8:9], v[8:9], v[4:5]
	v_fmac_f64_e32 v[8:9], v[10:11], v[6:7]
	v_cvt_f64_u32_e32 v[6:7], s8
	v_ldexp_f64 v[10:11], v[12:13], 32
	v_cndmask_b32_e64 v12, 0, 0xffffff80, vcc_lo
	v_cmp_class_f64_e64 vcc_lo, v[4:5], 0x260
	s_delay_alu instid0(VALU_DEP_2) | instskip(NEXT) | instid1(VALU_DEP_1)
	v_ldexp_f64 v[8:9], v[8:9], v12
	v_dual_add_f64 v[10:11], v[10:11], v[6:7] :: v_dual_cndmask_b32 v7, v9, v5, vcc_lo
	s_delay_alu instid0(VALU_DEP_2) | instskip(NEXT) | instid1(VALU_DEP_1)
	v_cndmask_b32_e32 v6, v8, v4, vcc_lo
	v_add_f64_e32 v[4:5], v[6:7], v[10:11]
	v_mul_f64_e32 v[8:9], v[6:7], v[6:7]
	s_delay_alu instid0(VALU_DEP_2) | instskip(NEXT) | instid1(VALU_DEP_2)
	v_mul_f64_e32 v[4:5], 0.5, v[4:5]
	v_trunc_f64_e32 v[8:9], v[8:9]
	s_delay_alu instid0(VALU_DEP_2) | instskip(NEXT) | instid1(VALU_DEP_2)
	v_floor_f64_e32 v[4:5], v[4:5]
	v_ldexp_f64 v[10:11], v[8:9], 0xffffffe0
	s_delay_alu instid0(VALU_DEP_2) | instskip(NEXT) | instid1(VALU_DEP_2)
	v_ldexp_f64 v[12:13], v[4:5], 0xffffffe0
	v_floor_f64_e32 v[10:11], v[10:11]
	s_delay_alu instid0(VALU_DEP_2) | instskip(NEXT) | instid1(VALU_DEP_2)
	v_floor_f64_e32 v[12:13], v[12:13]
	v_fmac_f64_e32 v[8:9], 0xc1f00000, v[10:11]
	v_cvt_i32_f64_e32 v11, v[10:11]
	s_delay_alu instid0(VALU_DEP_3) | instskip(NEXT) | instid1(VALU_DEP_3)
	v_fmac_f64_e32 v[4:5], 0xc1f00000, v[12:13]
	v_cvt_u32_f64_e32 v10, v[8:9]
	s_delay_alu instid0(VALU_DEP_2) | instskip(SKIP_1) | instid1(VALU_DEP_3)
	v_cvt_u32_f64_e32 v4, v[4:5]
	v_cvt_i32_f64_e32 v5, v[12:13]
	v_cmpx_ne_u64_e64 v[2:3], v[10:11]
	s_cbranch_execz .LBB0_14
; %bb.9:
	v_floor_f64_e32 v[6:7], v[6:7]
	s_delay_alu instid0(VALU_DEP_1) | instskip(NEXT) | instid1(VALU_DEP_1)
	v_ldexp_f64 v[8:9], v[6:7], 0xffffffe0
	v_floor_f64_e32 v[8:9], v[8:9]
	s_delay_alu instid0(VALU_DEP_1) | instskip(SKIP_1) | instid1(VALU_DEP_2)
	v_fmac_f64_e32 v[6:7], 0xc1f00000, v[8:9]
	v_cvt_i32_f64_e32 v9, v[8:9]
	v_cvt_u32_f64_e32 v8, v[6:7]
	s_delay_alu instid0(VALU_DEP_1) | instskip(NEXT) | instid1(VALU_DEP_1)
	v_mul_u64_e32 v[6:7], v[8:9], v[8:9]
	v_sub_nc_u64_e32 v[2:3], v[2:3], v[6:7]
	s_delay_alu instid0(VALU_DEP_1) | instskip(NEXT) | instid1(VALU_DEP_2)
	v_cvt_f64_i32_e32 v[6:7], v3
	v_cvt_f64_u32_e32 v[2:3], v2
	s_delay_alu instid0(VALU_DEP_2) | instskip(NEXT) | instid1(VALU_DEP_1)
	v_ldexp_f64 v[6:7], v[6:7], 32
	v_add_f64_e32 v[2:3], v[6:7], v[2:3]
	s_delay_alu instid0(VALU_DEP_1) | instskip(NEXT) | instid1(VALU_DEP_1)
	v_cmp_gt_f64_e64 s7, 0x10000000, |v[2:3]|
	v_cndmask_b32_e64 v6, 0, 0x100, s7
	s_delay_alu instid0(VALU_DEP_1) | instskip(NEXT) | instid1(VALU_DEP_1)
	v_ldexp_f64 v[2:3], |v[2:3]|, v6
	v_rsq_f64_e32 v[6:7], v[2:3]
	v_cmp_class_f64_e64 vcc_lo, v[2:3], 0x260
	s_delay_alu instid0(TRANS32_DEP_1) | instskip(SKIP_1) | instid1(VALU_DEP_1)
	v_mul_f64_e32 v[8:9], v[2:3], v[6:7]
	v_mul_f64_e32 v[6:7], 0.5, v[6:7]
	v_fma_f64 v[10:11], -v[6:7], v[8:9], 0.5
	s_delay_alu instid0(VALU_DEP_1) | instskip(SKIP_1) | instid1(VALU_DEP_2)
	v_fmac_f64_e32 v[8:9], v[8:9], v[10:11]
	v_fmac_f64_e32 v[6:7], v[6:7], v[10:11]
	v_fma_f64 v[10:11], -v[8:9], v[8:9], v[2:3]
	s_delay_alu instid0(VALU_DEP_1) | instskip(NEXT) | instid1(VALU_DEP_1)
	v_fmac_f64_e32 v[8:9], v[10:11], v[6:7]
	v_fma_f64 v[10:11], -v[8:9], v[8:9], v[2:3]
	s_delay_alu instid0(VALU_DEP_1) | instskip(SKIP_2) | instid1(VALU_DEP_1)
	v_fmac_f64_e32 v[8:9], v[10:11], v[6:7]
	v_cndmask_b32_e64 v6, 0, 0xffffff80, s7
	s_mov_b32 s7, exec_lo
	v_ldexp_f64 v[6:7], v[8:9], v6
	s_delay_alu instid0(VALU_DEP_1) | instskip(NEXT) | instid1(VALU_DEP_1)
	v_dual_cndmask_b32 v3, v7, v3 :: v_dual_cndmask_b32 v2, v6, v2
	v_ceil_f64_e32 v[2:3], v[2:3]
	s_delay_alu instid0(VALU_DEP_1) | instskip(NEXT) | instid1(VALU_DEP_1)
	v_ldexp_f64 v[6:7], v[2:3], 0xffffffe0
	v_floor_f64_e32 v[6:7], v[6:7]
	s_delay_alu instid0(VALU_DEP_1) | instskip(SKIP_1) | instid1(VALU_DEP_2)
	v_fmac_f64_e32 v[2:3], 0xc1f00000, v[6:7]
	v_cvt_i32_f64_e32 v7, v[6:7]
	v_cvt_u32_f64_e32 v6, v[2:3]
	s_delay_alu instid0(VALU_DEP_1) | instskip(SKIP_2) | instid1(VALU_DEP_3)
	v_sub_nc_u64_e32 v[2:3], v[4:5], v[6:7]
	v_cmp_gt_i64_e32 vcc_lo, v[4:5], v[6:7]
	v_add_nc_u64_e32 v[6:7], v[4:5], v[6:7]
	v_dual_cndmask_b32 v5, 0, v3 :: v_dual_cndmask_b32 v4, 0, v2
	s_delay_alu instid0(VALU_DEP_2) | instskip(NEXT) | instid1(VALU_DEP_2)
	v_add_nc_u64_e32 v[2:3], 1, v[6:7]
	v_add_nc_u64_e32 v[6:7], 1, v[4:5]
	s_delay_alu instid0(VALU_DEP_1)
	v_cmpx_lt_i64_e64 v[6:7], v[2:3]
	s_cbranch_execz .LBB0_13
; %bb.10:
	v_lshlrev_b64_e32 v[6:7], 1, v[0:1]
	s_mov_b32 s8, 0
.LBB0_11:                               ; =>This Inner Loop Header: Depth=1
	v_add_nc_u64_e32 v[8:9], v[4:5], v[2:3]
	s_delay_alu instid0(VALU_DEP_1) | instskip(NEXT) | instid1(VALU_DEP_1)
	v_ashrrev_i64 v[8:9], 1, v[8:9]
	v_add_nc_u64_e32 v[10:11], s[0:1], v[8:9]
	s_delay_alu instid0(VALU_DEP_1) | instskip(NEXT) | instid1(VALU_DEP_1)
	v_mul_u64_e32 v[10:11], v[10:11], v[8:9]
	v_cmp_gt_i64_e32 vcc_lo, v[10:11], v[6:7]
	v_dual_cndmask_b32 v5, v9, v5 :: v_dual_cndmask_b32 v4, v8, v4
	v_dual_cndmask_b32 v3, v3, v9 :: v_dual_cndmask_b32 v2, v2, v8
	s_delay_alu instid0(VALU_DEP_2) | instskip(NEXT) | instid1(VALU_DEP_1)
	v_add_nc_u64_e32 v[10:11], 1, v[4:5]
	v_cmp_ge_i64_e32 vcc_lo, v[10:11], v[2:3]
	s_or_b32 s8, vcc_lo, s8
	s_delay_alu instid0(SALU_CYCLE_1)
	s_and_not1_b32 exec_lo, exec_lo, s8
	s_cbranch_execnz .LBB0_11
; %bb.12:
	s_or_b32 exec_lo, exec_lo, s8
.LBB0_13:
	s_delay_alu instid0(SALU_CYCLE_1)
	s_or_b32 exec_lo, exec_lo, s7
.LBB0_14:
	s_delay_alu instid0(SALU_CYCLE_1) | instskip(NEXT) | instid1(VALU_DEP_2)
	s_or_b32 exec_lo, exec_lo, s3
	v_add_nc_u64_e32 v[2:3], s[0:1], v[4:5]
	s_delay_alu instid0(VALU_DEP_1) | instskip(NEXT) | instid1(VALU_DEP_1)
	v_mul_u64_e32 v[2:3], v[2:3], v[4:5]
	v_ashrrev_i64 v[2:3], 1, v[2:3]
	s_delay_alu instid0(VALU_DEP_1)
	v_sub_nc_u64_e32 v[2:3], v[0:1], v[2:3]
.LBB0_15:
	s_or_b32 exec_lo, exec_lo, s2
	s_wait_kmcnt 0x0
	v_lshl_add_u64 v[0:1], v[0:1], 2, s[4:5]
	v_add_nc_u32_e32 v3, s6, v4
	s_delay_alu instid0(VALU_DEP_2)
	v_lshl_add_u64 v[4:5], s[14:15], 2, v[0:1]
	s_clause 0x1
	global_store_b32 v[0:1], v3, off
	global_store_b32 v[4:5], v2, off
.LBB0_16:
	s_endpgm
	.section	.rodata,"a",@progbits
	.p2align	6, 0x0
	.amdhsa_kernel _ZN2at6native19tril_indices_kernelIiEEvPT_lllll
		.amdhsa_group_segment_fixed_size 0
		.amdhsa_private_segment_fixed_size 0
		.amdhsa_kernarg_size 304
		.amdhsa_user_sgpr_count 2
		.amdhsa_user_sgpr_dispatch_ptr 0
		.amdhsa_user_sgpr_queue_ptr 0
		.amdhsa_user_sgpr_kernarg_segment_ptr 1
		.amdhsa_user_sgpr_dispatch_id 0
		.amdhsa_user_sgpr_kernarg_preload_length 0
		.amdhsa_user_sgpr_kernarg_preload_offset 0
		.amdhsa_user_sgpr_private_segment_size 0
		.amdhsa_wavefront_size32 1
		.amdhsa_uses_dynamic_stack 0
		.amdhsa_enable_private_segment 0
		.amdhsa_system_sgpr_workgroup_id_x 1
		.amdhsa_system_sgpr_workgroup_id_y 0
		.amdhsa_system_sgpr_workgroup_id_z 0
		.amdhsa_system_sgpr_workgroup_info 0
		.amdhsa_system_vgpr_workitem_id 0
		.amdhsa_next_free_vgpr 20
		.amdhsa_next_free_sgpr 27
		.amdhsa_named_barrier_count 0
		.amdhsa_reserve_vcc 1
		.amdhsa_float_round_mode_32 0
		.amdhsa_float_round_mode_16_64 0
		.amdhsa_float_denorm_mode_32 3
		.amdhsa_float_denorm_mode_16_64 3
		.amdhsa_fp16_overflow 0
		.amdhsa_memory_ordered 1
		.amdhsa_forward_progress 1
		.amdhsa_inst_pref_size 15
		.amdhsa_round_robin_scheduling 0
		.amdhsa_exception_fp_ieee_invalid_op 0
		.amdhsa_exception_fp_denorm_src 0
		.amdhsa_exception_fp_ieee_div_zero 0
		.amdhsa_exception_fp_ieee_overflow 0
		.amdhsa_exception_fp_ieee_underflow 0
		.amdhsa_exception_fp_ieee_inexact 0
		.amdhsa_exception_int_div_zero 0
	.end_amdhsa_kernel
	.section	.text._ZN2at6native19tril_indices_kernelIiEEvPT_lllll,"axG",@progbits,_ZN2at6native19tril_indices_kernelIiEEvPT_lllll,comdat
.Lfunc_end0:
	.size	_ZN2at6native19tril_indices_kernelIiEEvPT_lllll, .Lfunc_end0-_ZN2at6native19tril_indices_kernelIiEEvPT_lllll
                                        ; -- End function
	.set _ZN2at6native19tril_indices_kernelIiEEvPT_lllll.num_vgpr, 20
	.set _ZN2at6native19tril_indices_kernelIiEEvPT_lllll.num_agpr, 0
	.set _ZN2at6native19tril_indices_kernelIiEEvPT_lllll.numbered_sgpr, 27
	.set _ZN2at6native19tril_indices_kernelIiEEvPT_lllll.num_named_barrier, 0
	.set _ZN2at6native19tril_indices_kernelIiEEvPT_lllll.private_seg_size, 0
	.set _ZN2at6native19tril_indices_kernelIiEEvPT_lllll.uses_vcc, 1
	.set _ZN2at6native19tril_indices_kernelIiEEvPT_lllll.uses_flat_scratch, 0
	.set _ZN2at6native19tril_indices_kernelIiEEvPT_lllll.has_dyn_sized_stack, 0
	.set _ZN2at6native19tril_indices_kernelIiEEvPT_lllll.has_recursion, 0
	.set _ZN2at6native19tril_indices_kernelIiEEvPT_lllll.has_indirect_call, 0
	.section	.AMDGPU.csdata,"",@progbits
; Kernel info:
; codeLenInByte = 1848
; TotalNumSgprs: 29
; NumVgprs: 20
; ScratchSize: 0
; MemoryBound: 0
; FloatMode: 240
; IeeeMode: 1
; LDSByteSize: 0 bytes/workgroup (compile time only)
; SGPRBlocks: 0
; VGPRBlocks: 1
; NumSGPRsForWavesPerEU: 29
; NumVGPRsForWavesPerEU: 20
; NamedBarCnt: 0
; Occupancy: 16
; WaveLimiterHint : 0
; COMPUTE_PGM_RSRC2:SCRATCH_EN: 0
; COMPUTE_PGM_RSRC2:USER_SGPR: 2
; COMPUTE_PGM_RSRC2:TRAP_HANDLER: 0
; COMPUTE_PGM_RSRC2:TGID_X_EN: 1
; COMPUTE_PGM_RSRC2:TGID_Y_EN: 0
; COMPUTE_PGM_RSRC2:TGID_Z_EN: 0
; COMPUTE_PGM_RSRC2:TIDIG_COMP_CNT: 0
	.section	.text._ZN2at6native19tril_indices_kernelIlEEvPT_lllll,"axG",@progbits,_ZN2at6native19tril_indices_kernelIlEEvPT_lllll,comdat
	.protected	_ZN2at6native19tril_indices_kernelIlEEvPT_lllll ; -- Begin function _ZN2at6native19tril_indices_kernelIlEEvPT_lllll
	.globl	_ZN2at6native19tril_indices_kernelIlEEvPT_lllll
	.p2align	8
	.type	_ZN2at6native19tril_indices_kernelIlEEvPT_lllll,@function
_ZN2at6native19tril_indices_kernelIlEEvPT_lllll: ; @_ZN2at6native19tril_indices_kernelIlEEvPT_lllll
; %bb.0:
	s_clause 0x1
	s_load_b32 s2, s[0:1], 0x3c
	s_load_b128 s[12:15], s[0:1], 0x20
	s_bfe_u32 s3, ttmp6, 0x4000c
	s_and_b32 s4, ttmp6, 15
	s_add_co_i32 s3, s3, 1
	s_getreg_b32 s5, hwreg(HW_REG_IB_STS2, 6, 4)
	s_mul_i32 s3, ttmp9, s3
	v_mov_b32_e32 v1, 0
	s_add_co_i32 s4, s4, s3
	s_wait_kmcnt 0x0
	s_and_b32 s2, s2, 0xffff
	s_cmp_eq_u32 s5, 0
	s_cselect_b32 s3, ttmp9, s4
	s_delay_alu instid0(SALU_CYCLE_1) | instskip(SKIP_1) | instid1(VALU_DEP_1)
	v_mad_nc_u64_u32 v[0:1], s2, s3, v[0:1]
	s_mov_b32 s2, exec_lo
	v_cmpx_gt_i64_e64 s[14:15], v[0:1]
	s_cbranch_execz .LBB1_16
; %bb.1:
	s_load_b256 s[4:11], s[0:1], 0x0
                                        ; implicit-def: $vgpr2_vgpr3
                                        ; implicit-def: $vgpr4_vgpr5
	s_wait_xcnt 0x0
	s_mov_b32 s0, exec_lo
	v_cmpx_le_i64_e64 s[12:13], v[0:1]
	s_xor_b32 s1, exec_lo, s0
	s_cbranch_execz .LBB1_7
; %bb.2:
	v_sub_nc_u64_e64 v[2:3], v[0:1], s[12:13]
                                        ; implicit-def: $vgpr6_vgpr7
	s_mov_b32 s0, exec_lo
	s_wait_kmcnt 0x0
	s_delay_alu instid0(VALU_DEP_1) | instskip(NEXT) | instid1(VALU_DEP_1)
	v_dual_mov_b32 v4, 0 :: v_dual_bitop2_b32 v5, s11, v3 bitop3:0x54
	v_cmpx_ne_u64_e32 0, v[4:5]
	s_xor_b32 s16, exec_lo, s0
	s_cbranch_execz .LBB1_4
; %bb.3:
	s_ashr_i32 s2, s11, 31
	s_mov_b32 s25, 0
	s_mov_b32 s3, s2
	v_dual_mov_b32 v11, v4 :: v_dual_ashrrev_i32 v6, 31, v3
	s_add_nc_u64 s[12:13], s[10:11], s[2:3]
	v_dual_mov_b32 v19, v4 :: v_dual_mov_b32 v5, v4
	s_xor_b64 s[12:13], s[12:13], s[2:3]
	s_delay_alu instid0(VALU_DEP_2) | instskip(SKIP_3) | instid1(VALU_DEP_1)
	v_mov_b32_e32 v7, v6
	s_cvt_f32_u32 s0, s12
	s_cvt_f32_u32 s3, s13
	s_sub_nc_u64 s[20:21], 0, s[12:13]
	v_add_nc_u64_e32 v[8:9], v[2:3], v[6:7]
	s_delay_alu instid0(SALU_CYCLE_1) | instskip(SKIP_1) | instid1(SALU_CYCLE_2)
	s_fmamk_f32 s0, s3, 0x4f800000, s0
	v_mov_b32_e32 v13, v4
	v_s_rcp_f32 s0, s0
	s_delay_alu instid0(VALU_DEP_2) | instskip(NEXT) | instid1(VALU_DEP_3)
	v_xor_b32_e32 v10, v8, v6
	v_xor_b32_e32 v12, v9, v6
	;; [unrolled: 1-line block ×3, first 2 shown]
	s_delay_alu instid0(TRANS32_DEP_1) | instskip(NEXT) | instid1(SALU_CYCLE_3)
	s_mul_f32 s0, s0, 0x5f7ffffc
	s_mul_f32 s3, s0, 0x2f800000
	s_delay_alu instid0(SALU_CYCLE_3) | instskip(NEXT) | instid1(SALU_CYCLE_3)
	s_trunc_f32 s3, s3
	s_fmamk_f32 s0, s3, 0xcf800000, s0
	s_cvt_u32_f32 s19, s3
	s_delay_alu instid0(SALU_CYCLE_2) | instskip(NEXT) | instid1(SALU_CYCLE_3)
	s_cvt_u32_f32 s18, s0
	s_mul_u64 s[22:23], s[20:21], s[18:19]
	s_delay_alu instid0(SALU_CYCLE_1)
	s_mul_hi_u32 s27, s18, s23
	s_mul_i32 s26, s18, s23
	s_mul_hi_u32 s24, s18, s22
	s_mul_i32 s3, s19, s22
	s_add_nc_u64 s[26:27], s[24:25], s[26:27]
	s_mul_hi_u32 s0, s19, s22
	s_mul_hi_u32 s17, s19, s23
	s_add_co_u32 s3, s26, s3
	s_add_co_ci_u32 s24, s27, s0
	s_mul_i32 s22, s19, s23
	s_add_co_ci_u32 s23, s17, 0
	s_delay_alu instid0(SALU_CYCLE_1) | instskip(NEXT) | instid1(SALU_CYCLE_1)
	s_add_nc_u64 s[22:23], s[24:25], s[22:23]
	s_add_co_u32 s18, s18, s22
	s_cselect_b32 s0, -1, 0
	s_delay_alu instid0(SALU_CYCLE_1) | instskip(SKIP_1) | instid1(SALU_CYCLE_1)
	s_cmp_lg_u32 s0, 0
	s_add_co_ci_u32 s19, s19, s23
	s_mul_u64 s[20:21], s[20:21], s[18:19]
	s_delay_alu instid0(SALU_CYCLE_1)
	s_mul_hi_u32 s23, s18, s21
	s_mul_i32 s22, s18, s21
	s_mul_hi_u32 s24, s18, s20
	s_mul_i32 s3, s19, s20
	s_add_nc_u64 s[22:23], s[24:25], s[22:23]
	s_mul_hi_u32 s0, s19, s20
	s_mul_hi_u32 s17, s19, s21
	s_add_co_u32 s3, s22, s3
	s_add_co_ci_u32 s24, s23, s0
	s_mul_i32 s20, s19, s21
	s_add_co_ci_u32 s21, s17, 0
	s_delay_alu instid0(SALU_CYCLE_1) | instskip(NEXT) | instid1(SALU_CYCLE_1)
	s_add_nc_u64 s[20:21], s[24:25], s[20:21]
	s_add_co_u32 s0, s18, s20
	s_cselect_b32 s3, -1, 0
	v_mul_hi_u32 v18, v10, s0
	s_cmp_lg_u32 s3, 0
	s_add_co_ci_u32 s24, s19, s21
	s_mov_b64 s[18:19], 0xffffffff
	v_mul_u64_e32 v[14:15], s[24:25], v[10:11]
	s_and_b64 s[18:19], s[0:1], s[18:19]
	v_mul_u64_e32 v[16:17], s[24:25], v[12:13]
	v_mul_u64_e32 v[8:9], s[18:19], v[12:13]
	s_delay_alu instid0(VALU_DEP_3) | instskip(NEXT) | instid1(VALU_DEP_1)
	v_add_nc_u64_e32 v[14:15], v[18:19], v[14:15]
	v_add_co_u32 v4, vcc_lo, v14, v8
	s_delay_alu instid0(VALU_DEP_2) | instskip(SKIP_1) | instid1(VALU_DEP_1)
	v_add_co_ci_u32_e32 v4, vcc_lo, v15, v9, vcc_lo
	v_add_co_ci_u32_e32 v17, vcc_lo, 0, v17, vcc_lo
	v_add_nc_u64_e32 v[4:5], v[4:5], v[16:17]
	s_delay_alu instid0(VALU_DEP_1) | instskip(NEXT) | instid1(VALU_DEP_1)
	v_mul_u64_e32 v[8:9], s[12:13], v[4:5]
	v_sub_nc_u32_e32 v7, v12, v9
	s_delay_alu instid0(VALU_DEP_2) | instskip(NEXT) | instid1(VALU_DEP_1)
	v_sub_co_u32 v8, vcc_lo, v10, v8
	v_sub_co_ci_u32_e64 v12, null, v12, v9, vcc_lo
	s_delay_alu instid0(VALU_DEP_3) | instskip(NEXT) | instid1(VALU_DEP_3)
	v_subrev_co_ci_u32_e64 v7, null, s13, v7, vcc_lo
	v_sub_co_u32 v10, s0, v8, s12
	s_delay_alu instid0(VALU_DEP_1) | instskip(NEXT) | instid1(VALU_DEP_2)
	v_subrev_co_ci_u32_e64 v7, null, 0, v7, s0
	v_cmp_le_u32_e32 vcc_lo, s12, v10
	v_cndmask_b32_e64 v9, 0, -1, vcc_lo
	s_delay_alu instid0(VALU_DEP_3)
	v_cmp_le_u32_e32 vcc_lo, s13, v7
	v_cndmask_b32_e64 v10, 0, -1, vcc_lo
	v_cmp_le_u32_e32 vcc_lo, s12, v8
	v_cndmask_b32_e64 v13, 0, -1, vcc_lo
	;; [unrolled: 2-line block ×3, first 2 shown]
	v_cmp_eq_u32_e32 vcc_lo, s13, v7
	v_cndmask_b32_e32 v7, v10, v9, vcc_lo
	v_cmp_eq_u32_e32 vcc_lo, s13, v12
	v_add_nc_u64_e32 v[8:9], 2, v[4:5]
	v_add_nc_u64_e32 v[10:11], 1, v[4:5]
	v_cndmask_b32_e32 v12, v14, v13, vcc_lo
	v_cmp_ne_u32_e32 vcc_lo, 0, v7
	s_delay_alu instid0(VALU_DEP_2) | instskip(NEXT) | instid1(VALU_DEP_4)
	v_cmp_ne_u32_e64 s0, 0, v12
	v_dual_cndmask_b32 v8, v10, v8 :: v_dual_cndmask_b32 v7, v11, v9
	s_delay_alu instid0(VALU_DEP_1) | instskip(NEXT) | instid1(VALU_DEP_1)
	v_dual_cndmask_b32 v4, v4, v8, s0 :: v_dual_cndmask_b32 v5, v5, v7, s0
	v_dual_mov_b32 v7, v6 :: v_dual_bitop2_b32 v4, v4, v6 bitop3:0x14
	s_delay_alu instid0(VALU_DEP_2) | instskip(NEXT) | instid1(VALU_DEP_1)
	v_xor_b32_e32 v5, v5, v6
	v_sub_nc_u64_e32 v[6:7], v[4:5], v[6:7]
.LBB1_4:
	s_and_not1_saveexec_b32 s0, s16
	s_cbranch_execz .LBB1_6
; %bb.5:
	v_cvt_f32_u32_e32 v4, s10
	s_sub_co_i32 s2, 0, s10
	s_delay_alu instid0(VALU_DEP_1) | instskip(SKIP_1) | instid1(TRANS32_DEP_1)
	v_rcp_iflag_f32_e32 v4, v4
	v_nop
	v_mul_f32_e32 v4, 0x4f7ffffe, v4
	s_delay_alu instid0(VALU_DEP_1) | instskip(NEXT) | instid1(VALU_DEP_1)
	v_cvt_u32_f32_e32 v4, v4
	v_mul_lo_u32 v5, s2, v4
	s_delay_alu instid0(VALU_DEP_1) | instskip(NEXT) | instid1(VALU_DEP_1)
	v_mul_hi_u32 v5, v4, v5
	v_add_nc_u32_e32 v4, v4, v5
	s_delay_alu instid0(VALU_DEP_1) | instskip(NEXT) | instid1(VALU_DEP_1)
	v_mul_hi_u32 v4, v2, v4
	v_mul_lo_u32 v5, v4, s10
	s_delay_alu instid0(VALU_DEP_1) | instskip(NEXT) | instid1(VALU_DEP_1)
	v_dual_add_nc_u32 v6, 1, v4 :: v_dual_sub_nc_u32 v5, v2, v5
	v_subrev_nc_u32_e32 v7, s10, v5
	v_cmp_le_u32_e32 vcc_lo, s10, v5
	s_delay_alu instid0(VALU_DEP_2) | instskip(NEXT) | instid1(VALU_DEP_4)
	v_dual_cndmask_b32 v5, v5, v7, vcc_lo :: v_dual_mov_b32 v7, 0
	v_cndmask_b32_e32 v4, v4, v6, vcc_lo
	s_delay_alu instid0(VALU_DEP_2) | instskip(NEXT) | instid1(VALU_DEP_2)
	v_cmp_le_u32_e32 vcc_lo, s10, v5
	v_add_nc_u32_e32 v6, 1, v4
	s_delay_alu instid0(VALU_DEP_1)
	v_cndmask_b32_e32 v6, v4, v6, vcc_lo
.LBB1_6:
	s_or_b32 exec_lo, exec_lo, s0
	s_delay_alu instid0(VALU_DEP_1) | instskip(SKIP_1) | instid1(SALU_CYCLE_1)
	v_mul_u64_e32 v[8:9], s[10:11], v[6:7]
	s_sub_nc_u64 s[2:3], s[10:11], s[8:9]
	s_add_nc_u64 s[2:3], s[2:3], 1
	s_delay_alu instid0(SALU_CYCLE_1) | instskip(NEXT) | instid1(VALU_DEP_2)
	v_add_nc_u64_e32 v[4:5], s[2:3], v[6:7]
	v_sub_nc_u64_e32 v[2:3], v[2:3], v[8:9]
.LBB1_7:
	s_and_not1_saveexec_b32 s2, s1
	s_cbranch_execz .LBB1_15
; %bb.8:
	v_lshlrev_b64_e32 v[2:3], 3, v[0:1]
	s_wait_kmcnt 0x0
	s_lshl_b64 s[8:9], s[8:9], 1
	s_delay_alu instid0(SALU_CYCLE_1) | instskip(SKIP_4) | instid1(VALU_DEP_1)
	s_add_nc_u64 s[0:1], s[8:9], -1
	s_sub_nc_u64 s[8:9], 1, s[8:9]
	s_mul_i32 s3, s0, s1
	v_cvt_f64_i32_e32 v[12:13], s9
	v_mad_nc_u64_u32 v[2:3], s0, s0, v[2:3]
	v_add3_u32 v3, s3, s3, v3
	s_delay_alu instid0(VALU_DEP_2) | instskip(SKIP_1) | instid1(VALU_DEP_2)
	v_cvt_f64_u32_e32 v[6:7], v2
	s_mov_b32 s3, exec_lo
	v_cvt_f64_i32_e32 v[4:5], v3
	s_delay_alu instid0(VALU_DEP_1) | instskip(NEXT) | instid1(VALU_DEP_1)
	v_ldexp_f64 v[4:5], v[4:5], 32
	v_add_f64_e32 v[4:5], v[4:5], v[6:7]
	s_delay_alu instid0(VALU_DEP_1) | instskip(SKIP_1) | instid1(VALU_DEP_1)
	v_cmp_gt_f64_e32 vcc_lo, 0x10000000, v[4:5]
	v_cndmask_b32_e64 v6, 0, 0x100, vcc_lo
	v_ldexp_f64 v[4:5], v[4:5], v6
	s_delay_alu instid0(VALU_DEP_1) | instskip(SKIP_1) | instid1(TRANS32_DEP_1)
	v_rsq_f64_e32 v[6:7], v[4:5]
	v_nop
	v_mul_f64_e32 v[8:9], v[4:5], v[6:7]
	v_mul_f64_e32 v[6:7], 0.5, v[6:7]
	s_delay_alu instid0(VALU_DEP_1) | instskip(NEXT) | instid1(VALU_DEP_1)
	v_fma_f64 v[10:11], -v[6:7], v[8:9], 0.5
	v_fmac_f64_e32 v[8:9], v[8:9], v[10:11]
	v_fmac_f64_e32 v[6:7], v[6:7], v[10:11]
	s_delay_alu instid0(VALU_DEP_2) | instskip(NEXT) | instid1(VALU_DEP_1)
	v_fma_f64 v[10:11], -v[8:9], v[8:9], v[4:5]
	v_fmac_f64_e32 v[8:9], v[10:11], v[6:7]
	s_delay_alu instid0(VALU_DEP_1) | instskip(NEXT) | instid1(VALU_DEP_1)
	v_fma_f64 v[10:11], -v[8:9], v[8:9], v[4:5]
	v_fmac_f64_e32 v[8:9], v[10:11], v[6:7]
	v_cvt_f64_u32_e32 v[6:7], s8
	v_ldexp_f64 v[10:11], v[12:13], 32
	v_cndmask_b32_e64 v12, 0, 0xffffff80, vcc_lo
	v_cmp_class_f64_e64 vcc_lo, v[4:5], 0x260
	s_delay_alu instid0(VALU_DEP_2) | instskip(NEXT) | instid1(VALU_DEP_1)
	v_ldexp_f64 v[8:9], v[8:9], v12
	v_dual_add_f64 v[10:11], v[10:11], v[6:7] :: v_dual_cndmask_b32 v7, v9, v5, vcc_lo
	s_delay_alu instid0(VALU_DEP_2) | instskip(NEXT) | instid1(VALU_DEP_1)
	v_cndmask_b32_e32 v6, v8, v4, vcc_lo
	v_add_f64_e32 v[4:5], v[6:7], v[10:11]
	v_mul_f64_e32 v[8:9], v[6:7], v[6:7]
	s_delay_alu instid0(VALU_DEP_2) | instskip(NEXT) | instid1(VALU_DEP_2)
	v_mul_f64_e32 v[4:5], 0.5, v[4:5]
	v_trunc_f64_e32 v[8:9], v[8:9]
	s_delay_alu instid0(VALU_DEP_2) | instskip(NEXT) | instid1(VALU_DEP_2)
	v_floor_f64_e32 v[4:5], v[4:5]
	v_ldexp_f64 v[10:11], v[8:9], 0xffffffe0
	s_delay_alu instid0(VALU_DEP_2) | instskip(NEXT) | instid1(VALU_DEP_2)
	v_ldexp_f64 v[12:13], v[4:5], 0xffffffe0
	v_floor_f64_e32 v[10:11], v[10:11]
	s_delay_alu instid0(VALU_DEP_2) | instskip(NEXT) | instid1(VALU_DEP_2)
	v_floor_f64_e32 v[12:13], v[12:13]
	v_fmac_f64_e32 v[8:9], 0xc1f00000, v[10:11]
	v_cvt_i32_f64_e32 v11, v[10:11]
	s_delay_alu instid0(VALU_DEP_3) | instskip(NEXT) | instid1(VALU_DEP_3)
	v_fmac_f64_e32 v[4:5], 0xc1f00000, v[12:13]
	v_cvt_u32_f64_e32 v10, v[8:9]
	s_delay_alu instid0(VALU_DEP_2) | instskip(SKIP_1) | instid1(VALU_DEP_3)
	v_cvt_u32_f64_e32 v4, v[4:5]
	v_cvt_i32_f64_e32 v5, v[12:13]
	v_cmpx_ne_u64_e64 v[2:3], v[10:11]
	s_cbranch_execz .LBB1_14
; %bb.9:
	v_floor_f64_e32 v[6:7], v[6:7]
	s_delay_alu instid0(VALU_DEP_1) | instskip(NEXT) | instid1(VALU_DEP_1)
	v_ldexp_f64 v[8:9], v[6:7], 0xffffffe0
	v_floor_f64_e32 v[8:9], v[8:9]
	s_delay_alu instid0(VALU_DEP_1) | instskip(SKIP_1) | instid1(VALU_DEP_2)
	v_fmac_f64_e32 v[6:7], 0xc1f00000, v[8:9]
	v_cvt_i32_f64_e32 v9, v[8:9]
	v_cvt_u32_f64_e32 v8, v[6:7]
	s_delay_alu instid0(VALU_DEP_1) | instskip(NEXT) | instid1(VALU_DEP_1)
	v_mul_u64_e32 v[6:7], v[8:9], v[8:9]
	v_sub_nc_u64_e32 v[2:3], v[2:3], v[6:7]
	s_delay_alu instid0(VALU_DEP_1) | instskip(NEXT) | instid1(VALU_DEP_2)
	v_cvt_f64_i32_e32 v[6:7], v3
	v_cvt_f64_u32_e32 v[2:3], v2
	s_delay_alu instid0(VALU_DEP_2) | instskip(NEXT) | instid1(VALU_DEP_1)
	v_ldexp_f64 v[6:7], v[6:7], 32
	v_add_f64_e32 v[2:3], v[6:7], v[2:3]
	s_delay_alu instid0(VALU_DEP_1) | instskip(NEXT) | instid1(VALU_DEP_1)
	v_cmp_gt_f64_e64 s8, 0x10000000, |v[2:3]|
	v_cndmask_b32_e64 v6, 0, 0x100, s8
	s_delay_alu instid0(VALU_DEP_1) | instskip(NEXT) | instid1(VALU_DEP_1)
	v_ldexp_f64 v[2:3], |v[2:3]|, v6
	v_rsq_f64_e32 v[6:7], v[2:3]
	v_cmp_class_f64_e64 vcc_lo, v[2:3], 0x260
	s_delay_alu instid0(TRANS32_DEP_1) | instskip(SKIP_1) | instid1(VALU_DEP_1)
	v_mul_f64_e32 v[8:9], v[2:3], v[6:7]
	v_mul_f64_e32 v[6:7], 0.5, v[6:7]
	v_fma_f64 v[10:11], -v[6:7], v[8:9], 0.5
	s_delay_alu instid0(VALU_DEP_1) | instskip(SKIP_1) | instid1(VALU_DEP_2)
	v_fmac_f64_e32 v[8:9], v[8:9], v[10:11]
	v_fmac_f64_e32 v[6:7], v[6:7], v[10:11]
	v_fma_f64 v[10:11], -v[8:9], v[8:9], v[2:3]
	s_delay_alu instid0(VALU_DEP_1) | instskip(NEXT) | instid1(VALU_DEP_1)
	v_fmac_f64_e32 v[8:9], v[10:11], v[6:7]
	v_fma_f64 v[10:11], -v[8:9], v[8:9], v[2:3]
	s_delay_alu instid0(VALU_DEP_1) | instskip(SKIP_2) | instid1(VALU_DEP_1)
	v_fmac_f64_e32 v[8:9], v[10:11], v[6:7]
	v_cndmask_b32_e64 v6, 0, 0xffffff80, s8
	s_mov_b32 s8, exec_lo
	v_ldexp_f64 v[6:7], v[8:9], v6
	s_delay_alu instid0(VALU_DEP_1) | instskip(NEXT) | instid1(VALU_DEP_1)
	v_dual_cndmask_b32 v3, v7, v3 :: v_dual_cndmask_b32 v2, v6, v2
	v_ceil_f64_e32 v[2:3], v[2:3]
	s_delay_alu instid0(VALU_DEP_1) | instskip(NEXT) | instid1(VALU_DEP_1)
	v_ldexp_f64 v[6:7], v[2:3], 0xffffffe0
	v_floor_f64_e32 v[6:7], v[6:7]
	s_delay_alu instid0(VALU_DEP_1) | instskip(SKIP_1) | instid1(VALU_DEP_2)
	v_fmac_f64_e32 v[2:3], 0xc1f00000, v[6:7]
	v_cvt_i32_f64_e32 v7, v[6:7]
	v_cvt_u32_f64_e32 v6, v[2:3]
	s_delay_alu instid0(VALU_DEP_1) | instskip(SKIP_2) | instid1(VALU_DEP_3)
	v_sub_nc_u64_e32 v[2:3], v[4:5], v[6:7]
	v_cmp_gt_i64_e32 vcc_lo, v[4:5], v[6:7]
	v_add_nc_u64_e32 v[6:7], v[4:5], v[6:7]
	v_dual_cndmask_b32 v5, 0, v3 :: v_dual_cndmask_b32 v4, 0, v2
	s_delay_alu instid0(VALU_DEP_2) | instskip(NEXT) | instid1(VALU_DEP_2)
	v_add_nc_u64_e32 v[2:3], 1, v[6:7]
	v_add_nc_u64_e32 v[6:7], 1, v[4:5]
	s_delay_alu instid0(VALU_DEP_1)
	v_cmpx_lt_i64_e64 v[6:7], v[2:3]
	s_cbranch_execz .LBB1_13
; %bb.10:
	v_lshlrev_b64_e32 v[6:7], 1, v[0:1]
	s_mov_b32 s9, 0
.LBB1_11:                               ; =>This Inner Loop Header: Depth=1
	v_add_nc_u64_e32 v[8:9], v[4:5], v[2:3]
	s_delay_alu instid0(VALU_DEP_1) | instskip(NEXT) | instid1(VALU_DEP_1)
	v_ashrrev_i64 v[8:9], 1, v[8:9]
	v_add_nc_u64_e32 v[10:11], s[0:1], v[8:9]
	s_delay_alu instid0(VALU_DEP_1) | instskip(NEXT) | instid1(VALU_DEP_1)
	v_mul_u64_e32 v[10:11], v[10:11], v[8:9]
	v_cmp_gt_i64_e32 vcc_lo, v[10:11], v[6:7]
	v_dual_cndmask_b32 v5, v9, v5 :: v_dual_cndmask_b32 v4, v8, v4
	v_dual_cndmask_b32 v3, v3, v9 :: v_dual_cndmask_b32 v2, v2, v8
	s_delay_alu instid0(VALU_DEP_2) | instskip(NEXT) | instid1(VALU_DEP_1)
	v_add_nc_u64_e32 v[10:11], 1, v[4:5]
	v_cmp_ge_i64_e32 vcc_lo, v[10:11], v[2:3]
	s_or_b32 s9, vcc_lo, s9
	s_delay_alu instid0(SALU_CYCLE_1)
	s_and_not1_b32 exec_lo, exec_lo, s9
	s_cbranch_execnz .LBB1_11
; %bb.12:
	s_or_b32 exec_lo, exec_lo, s9
.LBB1_13:
	s_delay_alu instid0(SALU_CYCLE_1)
	s_or_b32 exec_lo, exec_lo, s8
.LBB1_14:
	s_delay_alu instid0(SALU_CYCLE_1) | instskip(NEXT) | instid1(VALU_DEP_2)
	s_or_b32 exec_lo, exec_lo, s3
	v_add_nc_u64_e32 v[2:3], s[0:1], v[4:5]
	s_delay_alu instid0(VALU_DEP_1) | instskip(NEXT) | instid1(VALU_DEP_1)
	v_mul_u64_e32 v[2:3], v[2:3], v[4:5]
	v_ashrrev_i64 v[2:3], 1, v[2:3]
	s_delay_alu instid0(VALU_DEP_1)
	v_sub_nc_u64_e32 v[2:3], v[0:1], v[2:3]
.LBB1_15:
	s_or_b32 exec_lo, exec_lo, s2
	s_wait_kmcnt 0x0
	v_lshl_add_u64 v[0:1], v[0:1], 3, s[4:5]
	v_add_nc_u64_e32 v[4:5], s[6:7], v[4:5]
	s_delay_alu instid0(VALU_DEP_2)
	v_lshl_add_u64 v[6:7], s[14:15], 3, v[0:1]
	s_clause 0x1
	global_store_b64 v[0:1], v[4:5], off
	global_store_b64 v[6:7], v[2:3], off
.LBB1_16:
	s_endpgm
	.section	.rodata,"a",@progbits
	.p2align	6, 0x0
	.amdhsa_kernel _ZN2at6native19tril_indices_kernelIlEEvPT_lllll
		.amdhsa_group_segment_fixed_size 0
		.amdhsa_private_segment_fixed_size 0
		.amdhsa_kernarg_size 304
		.amdhsa_user_sgpr_count 2
		.amdhsa_user_sgpr_dispatch_ptr 0
		.amdhsa_user_sgpr_queue_ptr 0
		.amdhsa_user_sgpr_kernarg_segment_ptr 1
		.amdhsa_user_sgpr_dispatch_id 0
		.amdhsa_user_sgpr_kernarg_preload_length 0
		.amdhsa_user_sgpr_kernarg_preload_offset 0
		.amdhsa_user_sgpr_private_segment_size 0
		.amdhsa_wavefront_size32 1
		.amdhsa_uses_dynamic_stack 0
		.amdhsa_enable_private_segment 0
		.amdhsa_system_sgpr_workgroup_id_x 1
		.amdhsa_system_sgpr_workgroup_id_y 0
		.amdhsa_system_sgpr_workgroup_id_z 0
		.amdhsa_system_sgpr_workgroup_info 0
		.amdhsa_system_vgpr_workitem_id 0
		.amdhsa_next_free_vgpr 20
		.amdhsa_next_free_sgpr 28
		.amdhsa_named_barrier_count 0
		.amdhsa_reserve_vcc 1
		.amdhsa_float_round_mode_32 0
		.amdhsa_float_round_mode_16_64 0
		.amdhsa_float_denorm_mode_32 3
		.amdhsa_float_denorm_mode_16_64 3
		.amdhsa_fp16_overflow 0
		.amdhsa_memory_ordered 1
		.amdhsa_forward_progress 1
		.amdhsa_inst_pref_size 15
		.amdhsa_round_robin_scheduling 0
		.amdhsa_exception_fp_ieee_invalid_op 0
		.amdhsa_exception_fp_denorm_src 0
		.amdhsa_exception_fp_ieee_div_zero 0
		.amdhsa_exception_fp_ieee_overflow 0
		.amdhsa_exception_fp_ieee_underflow 0
		.amdhsa_exception_fp_ieee_inexact 0
		.amdhsa_exception_int_div_zero 0
	.end_amdhsa_kernel
	.section	.text._ZN2at6native19tril_indices_kernelIlEEvPT_lllll,"axG",@progbits,_ZN2at6native19tril_indices_kernelIlEEvPT_lllll,comdat
.Lfunc_end1:
	.size	_ZN2at6native19tril_indices_kernelIlEEvPT_lllll, .Lfunc_end1-_ZN2at6native19tril_indices_kernelIlEEvPT_lllll
                                        ; -- End function
	.set _ZN2at6native19tril_indices_kernelIlEEvPT_lllll.num_vgpr, 20
	.set _ZN2at6native19tril_indices_kernelIlEEvPT_lllll.num_agpr, 0
	.set _ZN2at6native19tril_indices_kernelIlEEvPT_lllll.numbered_sgpr, 28
	.set _ZN2at6native19tril_indices_kernelIlEEvPT_lllll.num_named_barrier, 0
	.set _ZN2at6native19tril_indices_kernelIlEEvPT_lllll.private_seg_size, 0
	.set _ZN2at6native19tril_indices_kernelIlEEvPT_lllll.uses_vcc, 1
	.set _ZN2at6native19tril_indices_kernelIlEEvPT_lllll.uses_flat_scratch, 0
	.set _ZN2at6native19tril_indices_kernelIlEEvPT_lllll.has_dyn_sized_stack, 0
	.set _ZN2at6native19tril_indices_kernelIlEEvPT_lllll.has_recursion, 0
	.set _ZN2at6native19tril_indices_kernelIlEEvPT_lllll.has_indirect_call, 0
	.section	.AMDGPU.csdata,"",@progbits
; Kernel info:
; codeLenInByte = 1848
; TotalNumSgprs: 30
; NumVgprs: 20
; ScratchSize: 0
; MemoryBound: 0
; FloatMode: 240
; IeeeMode: 1
; LDSByteSize: 0 bytes/workgroup (compile time only)
; SGPRBlocks: 0
; VGPRBlocks: 1
; NumSGPRsForWavesPerEU: 30
; NumVGPRsForWavesPerEU: 20
; NamedBarCnt: 0
; Occupancy: 16
; WaveLimiterHint : 0
; COMPUTE_PGM_RSRC2:SCRATCH_EN: 0
; COMPUTE_PGM_RSRC2:USER_SGPR: 2
; COMPUTE_PGM_RSRC2:TRAP_HANDLER: 0
; COMPUTE_PGM_RSRC2:TGID_X_EN: 1
; COMPUTE_PGM_RSRC2:TGID_Y_EN: 0
; COMPUTE_PGM_RSRC2:TGID_Z_EN: 0
; COMPUTE_PGM_RSRC2:TIDIG_COMP_CNT: 0
	.section	.text._ZN2at6native19triu_indices_kernelIiEEvPT_lllll,"axG",@progbits,_ZN2at6native19triu_indices_kernelIiEEvPT_lllll,comdat
	.protected	_ZN2at6native19triu_indices_kernelIiEEvPT_lllll ; -- Begin function _ZN2at6native19triu_indices_kernelIiEEvPT_lllll
	.globl	_ZN2at6native19triu_indices_kernelIiEEvPT_lllll
	.p2align	8
	.type	_ZN2at6native19triu_indices_kernelIiEEvPT_lllll,@function
_ZN2at6native19triu_indices_kernelIiEEvPT_lllll: ; @_ZN2at6native19triu_indices_kernelIiEEvPT_lllll
; %bb.0:
	s_clause 0x1
	s_load_b32 s2, s[0:1], 0x3c
	s_load_b128 s[12:15], s[0:1], 0x20
	s_bfe_u32 s3, ttmp6, 0x4000c
	s_and_b32 s4, ttmp6, 15
	s_add_co_i32 s3, s3, 1
	s_getreg_b32 s5, hwreg(HW_REG_IB_STS2, 6, 4)
	s_mul_i32 s3, ttmp9, s3
	v_mov_b32_e32 v1, 0
	s_add_co_i32 s4, s4, s3
	s_wait_kmcnt 0x0
	s_and_b32 s2, s2, 0xffff
	s_cmp_eq_u32 s5, 0
	s_cselect_b32 s3, ttmp9, s4
	s_delay_alu instid0(SALU_CYCLE_1) | instskip(SKIP_1) | instid1(VALU_DEP_1)
	v_mad_nc_u64_u32 v[0:1], s2, s3, v[0:1]
	s_mov_b32 s2, exec_lo
	v_cmpx_gt_i64_e64 s[14:15], v[0:1]
	s_cbranch_execz .LBB2_19
; %bb.1:
	s_load_b256 s[4:11], s[0:1], 0x0
                                        ; implicit-def: $vgpr2_vgpr3
                                        ; implicit-def: $vgpr4_vgpr5
	s_wait_xcnt 0x0
	s_mov_b32 s0, exec_lo
	v_cmpx_le_i64_e64 s[12:13], v[0:1]
	s_wait_kmcnt 0x0
	s_xor_b32 s7, exec_lo, s0
	s_cbranch_execz .LBB2_12
; %bb.2:
	v_sub_nc_u64_e64 v[2:3], v[0:1], s[12:13]
	s_lshl_b64 s[0:1], s[8:9], 1
	s_delay_alu instid0(SALU_CYCLE_1) | instskip(SKIP_3) | instid1(VALU_DEP_2)
	s_not_b64 s[2:3], s[0:1]
	s_or_b64 s[0:1], s[0:1], 1
	s_mul_u64 s[2:3], s[2:3], s[2:3]
	v_cvt_f64_i32_e32 v[14:15], s1
	v_lshlrev_b64_e32 v[4:5], 3, v[2:3]
	s_delay_alu instid0(VALU_DEP_1) | instskip(SKIP_1) | instid1(VALU_DEP_1)
	v_sub_nc_u64_e32 v[6:7], s[2:3], v[4:5]
	s_mov_b32 s2, exec_lo
	v_cvt_f64_i32_e32 v[4:5], v7
	s_delay_alu instid0(VALU_DEP_2) | instskip(NEXT) | instid1(VALU_DEP_2)
	v_cvt_f64_u32_e32 v[8:9], v6
	v_ldexp_f64 v[4:5], v[4:5], 32
	s_delay_alu instid0(VALU_DEP_1) | instskip(NEXT) | instid1(VALU_DEP_1)
	v_add_f64_e32 v[4:5], v[4:5], v[8:9]
	v_cmp_gt_f64_e32 vcc_lo, 0x10000000, v[4:5]
	v_cndmask_b32_e64 v8, 0, 0x100, vcc_lo
	s_delay_alu instid0(VALU_DEP_1) | instskip(NEXT) | instid1(VALU_DEP_1)
	v_ldexp_f64 v[4:5], v[4:5], v8
	v_rsq_f64_e32 v[8:9], v[4:5]
	v_nop
	s_delay_alu instid0(TRANS32_DEP_1) | instskip(SKIP_1) | instid1(VALU_DEP_1)
	v_mul_f64_e32 v[10:11], v[4:5], v[8:9]
	v_mul_f64_e32 v[8:9], 0.5, v[8:9]
	v_fma_f64 v[12:13], -v[8:9], v[10:11], 0.5
	s_delay_alu instid0(VALU_DEP_1) | instskip(SKIP_1) | instid1(VALU_DEP_2)
	v_fmac_f64_e32 v[10:11], v[10:11], v[12:13]
	v_fmac_f64_e32 v[8:9], v[8:9], v[12:13]
	v_fma_f64 v[12:13], -v[10:11], v[10:11], v[4:5]
	s_delay_alu instid0(VALU_DEP_1) | instskip(NEXT) | instid1(VALU_DEP_1)
	v_fmac_f64_e32 v[10:11], v[12:13], v[8:9]
	v_fma_f64 v[12:13], -v[10:11], v[10:11], v[4:5]
	s_delay_alu instid0(VALU_DEP_1) | instskip(SKIP_4) | instid1(VALU_DEP_2)
	v_fmac_f64_e32 v[10:11], v[12:13], v[8:9]
	v_cvt_f64_u32_e32 v[8:9], s0
	v_ldexp_f64 v[12:13], v[14:15], 32
	v_cndmask_b32_e64 v14, 0, 0xffffff80, vcc_lo
	v_cmp_class_f64_e64 vcc_lo, v[4:5], 0x260
	v_ldexp_f64 v[10:11], v[10:11], v14
	s_delay_alu instid0(VALU_DEP_4) | instskip(NEXT) | instid1(VALU_DEP_2)
	v_add_f64_e32 v[12:13], v[12:13], v[8:9]
	v_dual_cndmask_b32 v9, v11, v5 :: v_dual_cndmask_b32 v8, v10, v4
	s_delay_alu instid0(VALU_DEP_1) | instskip(SKIP_1) | instid1(VALU_DEP_2)
	v_add_f64_e64 v[4:5], v[12:13], -v[8:9]
	v_mul_f64_e32 v[10:11], v[8:9], v[8:9]
	v_mul_f64_e32 v[4:5], 0.5, v[4:5]
	s_delay_alu instid0(VALU_DEP_2) | instskip(NEXT) | instid1(VALU_DEP_2)
	v_trunc_f64_e32 v[10:11], v[10:11]
	v_floor_f64_e32 v[4:5], v[4:5]
	s_delay_alu instid0(VALU_DEP_2) | instskip(NEXT) | instid1(VALU_DEP_2)
	v_ldexp_f64 v[12:13], v[10:11], 0xffffffe0
	v_ldexp_f64 v[14:15], v[4:5], 0xffffffe0
	s_delay_alu instid0(VALU_DEP_2) | instskip(NEXT) | instid1(VALU_DEP_2)
	v_floor_f64_e32 v[12:13], v[12:13]
	v_floor_f64_e32 v[14:15], v[14:15]
	s_delay_alu instid0(VALU_DEP_2) | instskip(SKIP_1) | instid1(VALU_DEP_3)
	v_fmac_f64_e32 v[10:11], 0xc1f00000, v[12:13]
	v_cvt_i32_f64_e32 v13, v[12:13]
	v_fmac_f64_e32 v[4:5], 0xc1f00000, v[14:15]
	s_delay_alu instid0(VALU_DEP_3) | instskip(NEXT) | instid1(VALU_DEP_2)
	v_cvt_u32_f64_e32 v12, v[10:11]
	v_cvt_u32_f64_e32 v4, v[4:5]
	v_cvt_i32_f64_e32 v5, v[14:15]
	s_delay_alu instid0(VALU_DEP_3)
	v_cmpx_ne_u64_e64 v[6:7], v[12:13]
	s_cbranch_execz .LBB2_8
; %bb.3:
	v_floor_f64_e32 v[8:9], v[8:9]
	s_delay_alu instid0(VALU_DEP_1) | instskip(NEXT) | instid1(VALU_DEP_1)
	v_ldexp_f64 v[10:11], v[8:9], 0xffffffe0
	v_floor_f64_e32 v[10:11], v[10:11]
	s_delay_alu instid0(VALU_DEP_1) | instskip(SKIP_1) | instid1(VALU_DEP_2)
	v_fmac_f64_e32 v[8:9], 0xc1f00000, v[10:11]
	v_cvt_i32_f64_e32 v11, v[10:11]
	v_cvt_u32_f64_e32 v10, v[8:9]
	s_delay_alu instid0(VALU_DEP_1) | instskip(NEXT) | instid1(VALU_DEP_1)
	v_mul_u64_e32 v[8:9], v[10:11], v[10:11]
	v_sub_nc_u64_e32 v[6:7], v[6:7], v[8:9]
	s_delay_alu instid0(VALU_DEP_1) | instskip(NEXT) | instid1(VALU_DEP_2)
	v_cvt_f64_i32_e32 v[8:9], v7
	v_cvt_f64_u32_e32 v[6:7], v6
	s_delay_alu instid0(VALU_DEP_2) | instskip(NEXT) | instid1(VALU_DEP_1)
	v_ldexp_f64 v[8:9], v[8:9], 32
	v_add_f64_e32 v[6:7], v[8:9], v[6:7]
	s_delay_alu instid0(VALU_DEP_1) | instskip(NEXT) | instid1(VALU_DEP_1)
	v_cmp_gt_f64_e64 s3, 0x10000000, |v[6:7]|
	v_cndmask_b32_e64 v8, 0, 0x100, s3
	s_delay_alu instid0(VALU_DEP_1) | instskip(NEXT) | instid1(VALU_DEP_1)
	v_ldexp_f64 v[6:7], |v[6:7]|, v8
	v_rsq_f64_e32 v[8:9], v[6:7]
	v_cmp_class_f64_e64 vcc_lo, v[6:7], 0x260
	s_delay_alu instid0(TRANS32_DEP_1) | instskip(SKIP_1) | instid1(VALU_DEP_1)
	v_mul_f64_e32 v[10:11], v[6:7], v[8:9]
	v_mul_f64_e32 v[8:9], 0.5, v[8:9]
	v_fma_f64 v[12:13], -v[8:9], v[10:11], 0.5
	s_delay_alu instid0(VALU_DEP_1) | instskip(SKIP_1) | instid1(VALU_DEP_2)
	v_fmac_f64_e32 v[10:11], v[10:11], v[12:13]
	v_fmac_f64_e32 v[8:9], v[8:9], v[12:13]
	v_fma_f64 v[12:13], -v[10:11], v[10:11], v[6:7]
	s_delay_alu instid0(VALU_DEP_1) | instskip(NEXT) | instid1(VALU_DEP_1)
	v_fmac_f64_e32 v[10:11], v[12:13], v[8:9]
	v_fma_f64 v[12:13], -v[10:11], v[10:11], v[6:7]
	s_delay_alu instid0(VALU_DEP_1) | instskip(SKIP_2) | instid1(VALU_DEP_1)
	v_fmac_f64_e32 v[10:11], v[12:13], v[8:9]
	v_cndmask_b32_e64 v8, 0, 0xffffff80, s3
	s_mov_b32 s3, exec_lo
	v_ldexp_f64 v[8:9], v[10:11], v8
	s_delay_alu instid0(VALU_DEP_1) | instskip(NEXT) | instid1(VALU_DEP_1)
	v_dual_cndmask_b32 v7, v9, v7 :: v_dual_cndmask_b32 v6, v8, v6
	v_ceil_f64_e32 v[6:7], v[6:7]
	s_delay_alu instid0(VALU_DEP_1) | instskip(NEXT) | instid1(VALU_DEP_1)
	v_ldexp_f64 v[8:9], v[6:7], 0xffffffe0
	v_floor_f64_e32 v[8:9], v[8:9]
	s_delay_alu instid0(VALU_DEP_1) | instskip(SKIP_1) | instid1(VALU_DEP_2)
	v_fmac_f64_e32 v[6:7], 0xc1f00000, v[8:9]
	v_cvt_i32_f64_e32 v9, v[8:9]
	v_cvt_u32_f64_e32 v8, v[6:7]
	s_delay_alu instid0(VALU_DEP_1) | instskip(SKIP_2) | instid1(VALU_DEP_3)
	v_sub_nc_u64_e32 v[6:7], v[4:5], v[8:9]
	v_cmp_gt_i64_e32 vcc_lo, v[4:5], v[8:9]
	v_add_nc_u64_e32 v[8:9], v[4:5], v[8:9]
	v_dual_cndmask_b32 v5, 0, v7 :: v_dual_cndmask_b32 v4, 0, v6
	s_delay_alu instid0(VALU_DEP_2) | instskip(NEXT) | instid1(VALU_DEP_2)
	v_add_nc_u64_e32 v[6:7], 1, v[8:9]
	v_add_nc_u64_e32 v[8:9], 1, v[4:5]
	s_delay_alu instid0(VALU_DEP_1)
	v_cmpx_lt_i64_e64 v[8:9], v[6:7]
	s_cbranch_execz .LBB2_7
; %bb.4:
	v_lshlrev_b64_e32 v[8:9], 1, v[2:3]
	s_mov_b32 s8, 0
.LBB2_5:                                ; =>This Inner Loop Header: Depth=1
	v_add_nc_u64_e32 v[10:11], v[4:5], v[6:7]
	s_delay_alu instid0(VALU_DEP_1) | instskip(NEXT) | instid1(VALU_DEP_1)
	v_ashrrev_i64 v[10:11], 1, v[10:11]
	v_sub_nc_u64_e32 v[12:13], s[0:1], v[10:11]
	s_delay_alu instid0(VALU_DEP_1) | instskip(NEXT) | instid1(VALU_DEP_1)
	v_mul_u64_e32 v[12:13], v[12:13], v[10:11]
	v_cmp_gt_i64_e32 vcc_lo, v[12:13], v[8:9]
	v_dual_cndmask_b32 v5, v11, v5 :: v_dual_cndmask_b32 v4, v10, v4
	v_dual_cndmask_b32 v7, v7, v11 :: v_dual_cndmask_b32 v6, v6, v10
	s_delay_alu instid0(VALU_DEP_2) | instskip(NEXT) | instid1(VALU_DEP_1)
	v_add_nc_u64_e32 v[12:13], 1, v[4:5]
	v_cmp_ge_i64_e32 vcc_lo, v[12:13], v[6:7]
	s_or_b32 s8, vcc_lo, s8
	s_delay_alu instid0(SALU_CYCLE_1)
	s_and_not1_b32 exec_lo, exec_lo, s8
	s_cbranch_execnz .LBB2_5
; %bb.6:
	s_or_b32 exec_lo, exec_lo, s8
.LBB2_7:
	s_delay_alu instid0(SALU_CYCLE_1)
	s_or_b32 exec_lo, exec_lo, s3
.LBB2_8:
	s_delay_alu instid0(SALU_CYCLE_1) | instskip(SKIP_1) | instid1(SALU_CYCLE_1)
	s_or_b32 exec_lo, exec_lo, s2
	s_or_b64 s[2:3], s[12:13], s[10:11]
	s_and_b64 s[2:3], s[2:3], 0xffffffff00000000
	s_delay_alu instid0(SALU_CYCLE_1)
	s_cmp_lg_u64 s[2:3], 0
	s_cbranch_scc0 .LBB2_20
; %bb.9:
	s_ashr_i32 s2, s11, 31
	s_delay_alu instid0(SALU_CYCLE_1) | instskip(NEXT) | instid1(SALU_CYCLE_1)
	s_mov_b32 s3, s2
	s_add_nc_u64 s[8:9], s[10:11], s[2:3]
	s_delay_alu instid0(SALU_CYCLE_1) | instskip(NEXT) | instid1(SALU_CYCLE_1)
	s_xor_b64 s[8:9], s[8:9], s[2:3]
	s_cvt_f32_u32 s16, s8
	s_cvt_f32_u32 s17, s9
	s_sub_nc_u64 s[20:21], 0, s[8:9]
	s_delay_alu instid0(SALU_CYCLE_2) | instskip(NEXT) | instid1(SALU_CYCLE_3)
	s_fmamk_f32 s16, s17, 0x4f800000, s16
	v_s_rcp_f32 s16, s16
	s_delay_alu instid0(TRANS32_DEP_1) | instskip(NEXT) | instid1(SALU_CYCLE_3)
	s_mul_f32 s16, s16, 0x5f7ffffc
	s_mul_f32 s17, s16, 0x2f800000
	s_delay_alu instid0(SALU_CYCLE_3) | instskip(NEXT) | instid1(SALU_CYCLE_3)
	s_trunc_f32 s17, s17
	s_fmamk_f32 s16, s17, 0xcf800000, s16
	s_cvt_u32_f32 s19, s17
	s_mov_b32 s17, 0
	s_delay_alu instid0(SALU_CYCLE_1) | instskip(NEXT) | instid1(SALU_CYCLE_3)
	s_cvt_u32_f32 s18, s16
	s_mul_u64 s[22:23], s[20:21], s[18:19]
	s_delay_alu instid0(SALU_CYCLE_1)
	s_mul_hi_u32 s25, s18, s23
	s_mul_i32 s24, s18, s23
	s_mul_hi_u32 s16, s18, s22
	s_mul_i32 s27, s19, s22
	s_add_nc_u64 s[24:25], s[16:17], s[24:25]
	s_mul_hi_u32 s26, s19, s22
	s_mul_hi_u32 s28, s19, s23
	s_add_co_u32 s16, s24, s27
	s_add_co_ci_u32 s16, s25, s26
	s_mul_i32 s22, s19, s23
	s_add_co_ci_u32 s23, s28, 0
	s_delay_alu instid0(SALU_CYCLE_1) | instskip(NEXT) | instid1(SALU_CYCLE_1)
	s_add_nc_u64 s[22:23], s[16:17], s[22:23]
	s_add_co_u32 s18, s18, s22
	s_cselect_b32 s16, -1, 0
	s_delay_alu instid0(SALU_CYCLE_1) | instskip(SKIP_1) | instid1(SALU_CYCLE_1)
	s_cmp_lg_u32 s16, 0
	s_add_co_ci_u32 s19, s19, s23
	s_mul_u64 s[20:21], s[20:21], s[18:19]
	s_delay_alu instid0(SALU_CYCLE_1)
	s_mul_hi_u32 s23, s18, s21
	s_mul_i32 s22, s18, s21
	s_mul_hi_u32 s16, s18, s20
	s_mul_i32 s25, s19, s20
	s_add_nc_u64 s[22:23], s[16:17], s[22:23]
	s_mul_hi_u32 s24, s19, s20
	s_mul_hi_u32 s26, s19, s21
	s_add_co_u32 s16, s22, s25
	s_add_co_ci_u32 s16, s23, s24
	s_mul_i32 s20, s19, s21
	s_add_co_ci_u32 s21, s26, 0
	s_delay_alu instid0(SALU_CYCLE_1) | instskip(NEXT) | instid1(SALU_CYCLE_1)
	s_add_nc_u64 s[20:21], s[16:17], s[20:21]
	s_add_co_u32 s24, s18, s20
	s_cselect_b32 s16, -1, 0
	s_delay_alu instid0(SALU_CYCLE_1) | instskip(SKIP_2) | instid1(SALU_CYCLE_1)
	s_cmp_lg_u32 s16, 0
	s_add_co_ci_u32 s25, s19, s21
	s_ashr_i32 s18, s13, 31
	s_mov_b32 s19, s18
	s_delay_alu instid0(SALU_CYCLE_1) | instskip(NEXT) | instid1(SALU_CYCLE_1)
	s_add_nc_u64 s[20:21], s[12:13], s[18:19]
	s_xor_b64 s[20:21], s[20:21], s[18:19]
	s_delay_alu instid0(SALU_CYCLE_1)
	s_mul_hi_u32 s23, s20, s25
	s_mul_i32 s22, s20, s25
	s_mul_hi_u32 s16, s20, s24
	s_mul_i32 s27, s21, s24
	s_add_nc_u64 s[22:23], s[16:17], s[22:23]
	s_mul_hi_u32 s26, s21, s24
	s_mul_hi_u32 s13, s21, s25
	s_add_co_u32 s16, s22, s27
	s_add_co_ci_u32 s16, s23, s26
	s_mul_i32 s24, s21, s25
	s_add_co_ci_u32 s25, s13, 0
	s_delay_alu instid0(SALU_CYCLE_1) | instskip(NEXT) | instid1(SALU_CYCLE_1)
	s_add_nc_u64 s[22:23], s[16:17], s[24:25]
	s_and_b64 s[24:25], s[22:23], 0xffffffff00000000
	s_delay_alu instid0(SALU_CYCLE_1) | instskip(NEXT) | instid1(SALU_CYCLE_1)
	s_or_b32 s24, s24, s22
	s_mul_u64 s[22:23], s[8:9], s[24:25]
	s_delay_alu instid0(SALU_CYCLE_1)
	s_sub_co_u32 s13, s20, s22
	s_cselect_b32 s16, -1, 0
	s_sub_co_i32 s20, s21, s23
	s_cmp_lg_u32 s16, 0
	s_sub_co_ci_u32 s20, s20, s9
	s_sub_co_u32 s22, s13, s8
	s_cselect_b32 s26, -1, 0
	s_delay_alu instid0(SALU_CYCLE_1) | instskip(SKIP_2) | instid1(SALU_CYCLE_1)
	s_cmp_lg_u32 s26, 0
	s_add_nc_u64 s[26:27], s[24:25], 1
	s_sub_co_ci_u32 s20, s20, 0
	s_cmp_ge_u32 s20, s9
	s_cselect_b32 s28, -1, 0
	s_cmp_ge_u32 s22, s8
	s_cselect_b32 s22, -1, 0
	s_cmp_eq_u32 s20, s9
	s_cselect_b32 s20, s22, s28
	s_add_nc_u64 s[28:29], s[24:25], 2
	s_cmp_lg_u32 s20, 0
	s_cselect_b32 s20, s28, s26
	s_cselect_b32 s22, s29, s27
	s_cmp_lg_u32 s16, 0
	s_sub_co_ci_u32 s16, s21, s23
	s_delay_alu instid0(SALU_CYCLE_1)
	s_cmp_ge_u32 s16, s9
	s_cselect_b32 s21, -1, 0
	s_cmp_ge_u32 s13, s8
	s_cselect_b32 s8, -1, 0
	s_cmp_eq_u32 s16, s9
	s_cselect_b32 s8, s8, s21
	s_delay_alu instid0(SALU_CYCLE_1) | instskip(SKIP_3) | instid1(SALU_CYCLE_1)
	s_cmp_lg_u32 s8, 0
	s_cselect_b32 s9, s22, s25
	s_cselect_b32 s8, s20, s24
	s_xor_b64 s[2:3], s[18:19], s[2:3]
	s_xor_b64 s[8:9], s[8:9], s[2:3]
	s_delay_alu instid0(SALU_CYCLE_1)
	s_sub_nc_u64 s[2:3], s[8:9], s[2:3]
	s_cbranch_execnz .LBB2_11
.LBB2_10:
	v_cvt_f32_u32_e32 v6, s10
	s_sub_co_i32 s3, 0, s10
	s_delay_alu instid0(VALU_DEP_1) | instskip(SKIP_1) | instid1(TRANS32_DEP_1)
	v_rcp_iflag_f32_e32 v6, v6
	v_nop
	v_mul_f32_e32 v6, 0x4f7ffffe, v6
	s_delay_alu instid0(VALU_DEP_1) | instskip(NEXT) | instid1(VALU_DEP_1)
	v_cvt_u32_f32_e32 v6, v6
	v_readfirstlane_b32 s2, v6
	s_mul_i32 s3, s3, s2
	s_delay_alu instid0(SALU_CYCLE_1) | instskip(NEXT) | instid1(SALU_CYCLE_1)
	s_mul_hi_u32 s3, s2, s3
	s_add_co_i32 s2, s2, s3
	s_delay_alu instid0(SALU_CYCLE_1) | instskip(NEXT) | instid1(SALU_CYCLE_1)
	s_mul_hi_u32 s2, s12, s2
	s_mul_i32 s3, s2, s10
	s_add_co_i32 s8, s2, 1
	s_sub_co_i32 s3, s12, s3
	s_delay_alu instid0(SALU_CYCLE_1)
	s_sub_co_i32 s9, s3, s10
	s_cmp_ge_u32 s3, s10
	s_cselect_b32 s2, s8, s2
	s_cselect_b32 s3, s9, s3
	s_add_co_i32 s8, s2, 1
	s_cmp_ge_u32 s3, s10
	s_mov_b32 s3, 0
	s_cselect_b32 s2, s8, s2
.LBB2_11:
	v_sub_nc_u64_e32 v[6:7], s[0:1], v[4:5]
	v_add_nc_u64_e32 v[2:3], v[4:5], v[2:3]
	s_delay_alu instid0(VALU_DEP_2) | instskip(SKIP_1) | instid1(VALU_DEP_2)
	v_mul_u64_e32 v[6:7], v[6:7], v[4:5]
	v_add_nc_u64_e32 v[4:5], s[2:3], v[4:5]
	v_ashrrev_i64 v[6:7], 1, v[6:7]
	s_delay_alu instid0(VALU_DEP_1)
	v_sub_nc_u64_e32 v[2:3], v[2:3], v[6:7]
.LBB2_12:
	s_and_not1_saveexec_b32 s1, s7
	s_cbranch_execz .LBB2_18
; %bb.13:
	v_dual_mov_b32 v2, 0 :: v_dual_bitop2_b32 v3, s11, v1 bitop3:0x54
                                        ; implicit-def: $vgpr4_vgpr5
	s_mov_b32 s0, exec_lo
	s_delay_alu instid0(VALU_DEP_1)
	v_cmpx_ne_u64_e32 0, v[2:3]
	s_xor_b32 s7, exec_lo, s0
	s_cbranch_execz .LBB2_15
; %bb.14:
	s_ashr_i32 s2, s11, 31
	s_mov_b32 s21, 0
	s_mov_b32 s3, s2
	v_dual_mov_b32 v9, v2 :: v_dual_ashrrev_i32 v4, 31, v1
	s_add_nc_u64 s[8:9], s[10:11], s[2:3]
	v_dual_mov_b32 v17, v2 :: v_dual_mov_b32 v3, v2
	s_xor_b64 s[8:9], s[8:9], s[2:3]
	s_delay_alu instid0(VALU_DEP_2) | instskip(SKIP_3) | instid1(VALU_DEP_1)
	v_mov_b32_e32 v5, v4
	s_cvt_f32_u32 s0, s8
	s_cvt_f32_u32 s3, s9
	s_sub_nc_u64 s[16:17], 0, s[8:9]
	v_add_nc_u64_e32 v[6:7], v[0:1], v[4:5]
	s_delay_alu instid0(SALU_CYCLE_1) | instskip(SKIP_1) | instid1(SALU_CYCLE_2)
	s_fmamk_f32 s0, s3, 0x4f800000, s0
	v_mov_b32_e32 v11, v2
	v_s_rcp_f32 s0, s0
	s_delay_alu instid0(VALU_DEP_2) | instskip(NEXT) | instid1(VALU_DEP_3)
	v_xor_b32_e32 v8, v6, v4
	v_xor_b32_e32 v10, v7, v4
	;; [unrolled: 1-line block ×3, first 2 shown]
	s_delay_alu instid0(TRANS32_DEP_1) | instskip(NEXT) | instid1(SALU_CYCLE_3)
	s_mul_f32 s0, s0, 0x5f7ffffc
	s_mul_f32 s3, s0, 0x2f800000
	s_delay_alu instid0(SALU_CYCLE_3) | instskip(NEXT) | instid1(SALU_CYCLE_3)
	s_trunc_f32 s3, s3
	s_fmamk_f32 s0, s3, 0xcf800000, s0
	s_cvt_u32_f32 s13, s3
	s_delay_alu instid0(SALU_CYCLE_2) | instskip(NEXT) | instid1(SALU_CYCLE_3)
	s_cvt_u32_f32 s12, s0
	s_mul_u64 s[18:19], s[16:17], s[12:13]
	s_delay_alu instid0(SALU_CYCLE_1)
	s_mul_hi_u32 s23, s12, s19
	s_mul_i32 s22, s12, s19
	s_mul_hi_u32 s20, s12, s18
	s_mul_i32 s3, s13, s18
	s_add_nc_u64 s[22:23], s[20:21], s[22:23]
	s_mul_hi_u32 s0, s13, s18
	s_mul_hi_u32 s24, s13, s19
	s_add_co_u32 s3, s22, s3
	s_add_co_ci_u32 s20, s23, s0
	s_mul_i32 s18, s13, s19
	s_add_co_ci_u32 s19, s24, 0
	s_delay_alu instid0(SALU_CYCLE_1) | instskip(NEXT) | instid1(SALU_CYCLE_1)
	s_add_nc_u64 s[18:19], s[20:21], s[18:19]
	s_add_co_u32 s12, s12, s18
	s_cselect_b32 s0, -1, 0
	s_delay_alu instid0(SALU_CYCLE_1) | instskip(SKIP_1) | instid1(SALU_CYCLE_1)
	s_cmp_lg_u32 s0, 0
	s_add_co_ci_u32 s13, s13, s19
	s_mul_u64 s[16:17], s[16:17], s[12:13]
	s_delay_alu instid0(SALU_CYCLE_1)
	s_mul_hi_u32 s19, s12, s17
	s_mul_i32 s18, s12, s17
	s_mul_hi_u32 s20, s12, s16
	s_mul_i32 s3, s13, s16
	s_add_nc_u64 s[18:19], s[20:21], s[18:19]
	s_mul_hi_u32 s0, s13, s16
	s_mul_hi_u32 s22, s13, s17
	s_add_co_u32 s3, s18, s3
	s_add_co_ci_u32 s20, s19, s0
	s_mul_i32 s16, s13, s17
	s_add_co_ci_u32 s17, s22, 0
	s_delay_alu instid0(SALU_CYCLE_1) | instskip(NEXT) | instid1(SALU_CYCLE_1)
	s_add_nc_u64 s[16:17], s[20:21], s[16:17]
	s_add_co_u32 s0, s12, s16
	s_cselect_b32 s3, -1, 0
	v_mul_hi_u32 v16, v8, s0
	s_cmp_lg_u32 s3, 0
	s_add_co_ci_u32 s20, s13, s17
	s_mov_b64 s[12:13], 0xffffffff
	v_mul_u64_e32 v[12:13], s[20:21], v[8:9]
	s_and_b64 s[12:13], s[0:1], s[12:13]
	v_mul_u64_e32 v[14:15], s[20:21], v[10:11]
	v_mul_u64_e32 v[6:7], s[12:13], v[10:11]
	s_delay_alu instid0(VALU_DEP_3) | instskip(NEXT) | instid1(VALU_DEP_1)
	v_add_nc_u64_e32 v[12:13], v[16:17], v[12:13]
	v_add_co_u32 v2, vcc_lo, v12, v6
	s_delay_alu instid0(VALU_DEP_2) | instskip(SKIP_1) | instid1(VALU_DEP_1)
	v_add_co_ci_u32_e32 v2, vcc_lo, v13, v7, vcc_lo
	v_add_co_ci_u32_e32 v15, vcc_lo, 0, v15, vcc_lo
	v_add_nc_u64_e32 v[2:3], v[2:3], v[14:15]
	s_delay_alu instid0(VALU_DEP_1) | instskip(NEXT) | instid1(VALU_DEP_1)
	v_mul_u64_e32 v[6:7], s[8:9], v[2:3]
	v_sub_nc_u32_e32 v5, v10, v7
	s_delay_alu instid0(VALU_DEP_2) | instskip(NEXT) | instid1(VALU_DEP_1)
	v_sub_co_u32 v6, vcc_lo, v8, v6
	v_sub_co_ci_u32_e64 v10, null, v10, v7, vcc_lo
	s_delay_alu instid0(VALU_DEP_3) | instskip(NEXT) | instid1(VALU_DEP_3)
	v_subrev_co_ci_u32_e64 v5, null, s9, v5, vcc_lo
	v_sub_co_u32 v8, s0, v6, s8
	s_delay_alu instid0(VALU_DEP_1) | instskip(NEXT) | instid1(VALU_DEP_2)
	v_subrev_co_ci_u32_e64 v5, null, 0, v5, s0
	v_cmp_le_u32_e32 vcc_lo, s8, v8
	v_cndmask_b32_e64 v7, 0, -1, vcc_lo
	s_delay_alu instid0(VALU_DEP_3)
	v_cmp_le_u32_e32 vcc_lo, s9, v5
	v_cndmask_b32_e64 v8, 0, -1, vcc_lo
	v_cmp_le_u32_e32 vcc_lo, s8, v6
	v_cndmask_b32_e64 v11, 0, -1, vcc_lo
	;; [unrolled: 2-line block ×3, first 2 shown]
	v_cmp_eq_u32_e32 vcc_lo, s9, v5
	v_cndmask_b32_e32 v5, v8, v7, vcc_lo
	v_cmp_eq_u32_e32 vcc_lo, s9, v10
	v_add_nc_u64_e32 v[6:7], 2, v[2:3]
	v_add_nc_u64_e32 v[8:9], 1, v[2:3]
	v_cndmask_b32_e32 v10, v12, v11, vcc_lo
	v_cmp_ne_u32_e32 vcc_lo, 0, v5
	s_delay_alu instid0(VALU_DEP_2) | instskip(NEXT) | instid1(VALU_DEP_4)
	v_cmp_ne_u32_e64 s0, 0, v10
	v_dual_cndmask_b32 v6, v8, v6 :: v_dual_cndmask_b32 v5, v9, v7
	s_delay_alu instid0(VALU_DEP_1) | instskip(NEXT) | instid1(VALU_DEP_1)
	v_dual_cndmask_b32 v2, v2, v6, s0 :: v_dual_cndmask_b32 v3, v3, v5, s0
	v_dual_mov_b32 v5, v4 :: v_dual_bitop2_b32 v2, v2, v4 bitop3:0x14
	s_delay_alu instid0(VALU_DEP_2) | instskip(NEXT) | instid1(VALU_DEP_1)
	v_xor_b32_e32 v3, v3, v4
	v_sub_nc_u64_e32 v[4:5], v[2:3], v[4:5]
.LBB2_15:
	s_and_not1_saveexec_b32 s0, s7
	s_cbranch_execz .LBB2_17
; %bb.16:
	v_cvt_f32_u32_e32 v2, s10
	s_sub_co_i32 s2, 0, s10
	s_delay_alu instid0(VALU_DEP_1) | instskip(SKIP_1) | instid1(TRANS32_DEP_1)
	v_rcp_iflag_f32_e32 v2, v2
	v_nop
	v_mul_f32_e32 v2, 0x4f7ffffe, v2
	s_delay_alu instid0(VALU_DEP_1) | instskip(NEXT) | instid1(VALU_DEP_1)
	v_cvt_u32_f32_e32 v2, v2
	v_mul_lo_u32 v3, s2, v2
	s_delay_alu instid0(VALU_DEP_1) | instskip(NEXT) | instid1(VALU_DEP_1)
	v_mul_hi_u32 v3, v2, v3
	v_add_nc_u32_e32 v2, v2, v3
	s_delay_alu instid0(VALU_DEP_1) | instskip(NEXT) | instid1(VALU_DEP_1)
	v_mul_hi_u32 v2, v0, v2
	v_mul_lo_u32 v3, v2, s10
	s_delay_alu instid0(VALU_DEP_1) | instskip(NEXT) | instid1(VALU_DEP_1)
	v_dual_add_nc_u32 v4, 1, v2 :: v_dual_sub_nc_u32 v3, v0, v3
	v_subrev_nc_u32_e32 v5, s10, v3
	v_cmp_le_u32_e32 vcc_lo, s10, v3
	s_delay_alu instid0(VALU_DEP_2) | instskip(NEXT) | instid1(VALU_DEP_4)
	v_dual_cndmask_b32 v3, v3, v5, vcc_lo :: v_dual_mov_b32 v5, 0
	v_cndmask_b32_e32 v2, v2, v4, vcc_lo
	s_delay_alu instid0(VALU_DEP_2) | instskip(NEXT) | instid1(VALU_DEP_2)
	v_cmp_le_u32_e32 vcc_lo, s10, v3
	v_add_nc_u32_e32 v4, 1, v2
	s_delay_alu instid0(VALU_DEP_1)
	v_cndmask_b32_e32 v4, v2, v4, vcc_lo
.LBB2_17:
	s_or_b32 exec_lo, exec_lo, s0
	s_delay_alu instid0(VALU_DEP_1) | instskip(NEXT) | instid1(VALU_DEP_1)
	v_mul_u64_e32 v[2:3], s[10:11], v[4:5]
	v_sub_nc_u64_e32 v[2:3], v[0:1], v[2:3]
.LBB2_18:
	s_or_b32 exec_lo, exec_lo, s1
	v_lshl_add_u64 v[0:1], v[0:1], 2, s[4:5]
	s_delay_alu instid0(VALU_DEP_2) | instskip(NEXT) | instid1(VALU_DEP_2)
	v_add_nc_u32_e32 v5, s6, v2
	v_lshl_add_u64 v[2:3], s[14:15], 2, v[0:1]
	s_clause 0x1
	global_store_b32 v[0:1], v4, off
	global_store_b32 v[2:3], v5, off
.LBB2_19:
	s_endpgm
.LBB2_20:
                                        ; implicit-def: $sgpr2_sgpr3
	s_branch .LBB2_10
	.section	.rodata,"a",@progbits
	.p2align	6, 0x0
	.amdhsa_kernel _ZN2at6native19triu_indices_kernelIiEEvPT_lllll
		.amdhsa_group_segment_fixed_size 0
		.amdhsa_private_segment_fixed_size 0
		.amdhsa_kernarg_size 304
		.amdhsa_user_sgpr_count 2
		.amdhsa_user_sgpr_dispatch_ptr 0
		.amdhsa_user_sgpr_queue_ptr 0
		.amdhsa_user_sgpr_kernarg_segment_ptr 1
		.amdhsa_user_sgpr_dispatch_id 0
		.amdhsa_user_sgpr_kernarg_preload_length 0
		.amdhsa_user_sgpr_kernarg_preload_offset 0
		.amdhsa_user_sgpr_private_segment_size 0
		.amdhsa_wavefront_size32 1
		.amdhsa_uses_dynamic_stack 0
		.amdhsa_enable_private_segment 0
		.amdhsa_system_sgpr_workgroup_id_x 1
		.amdhsa_system_sgpr_workgroup_id_y 0
		.amdhsa_system_sgpr_workgroup_id_z 0
		.amdhsa_system_sgpr_workgroup_info 0
		.amdhsa_system_vgpr_workitem_id 0
		.amdhsa_next_free_vgpr 18
		.amdhsa_next_free_sgpr 30
		.amdhsa_named_barrier_count 0
		.amdhsa_reserve_vcc 1
		.amdhsa_float_round_mode_32 0
		.amdhsa_float_round_mode_16_64 0
		.amdhsa_float_denorm_mode_32 3
		.amdhsa_float_denorm_mode_16_64 3
		.amdhsa_fp16_overflow 0
		.amdhsa_memory_ordered 1
		.amdhsa_forward_progress 1
		.amdhsa_inst_pref_size 20
		.amdhsa_round_robin_scheduling 0
		.amdhsa_exception_fp_ieee_invalid_op 0
		.amdhsa_exception_fp_denorm_src 0
		.amdhsa_exception_fp_ieee_div_zero 0
		.amdhsa_exception_fp_ieee_overflow 0
		.amdhsa_exception_fp_ieee_underflow 0
		.amdhsa_exception_fp_ieee_inexact 0
		.amdhsa_exception_int_div_zero 0
	.end_amdhsa_kernel
	.section	.text._ZN2at6native19triu_indices_kernelIiEEvPT_lllll,"axG",@progbits,_ZN2at6native19triu_indices_kernelIiEEvPT_lllll,comdat
.Lfunc_end2:
	.size	_ZN2at6native19triu_indices_kernelIiEEvPT_lllll, .Lfunc_end2-_ZN2at6native19triu_indices_kernelIiEEvPT_lllll
                                        ; -- End function
	.set _ZN2at6native19triu_indices_kernelIiEEvPT_lllll.num_vgpr, 18
	.set _ZN2at6native19triu_indices_kernelIiEEvPT_lllll.num_agpr, 0
	.set _ZN2at6native19triu_indices_kernelIiEEvPT_lllll.numbered_sgpr, 30
	.set _ZN2at6native19triu_indices_kernelIiEEvPT_lllll.num_named_barrier, 0
	.set _ZN2at6native19triu_indices_kernelIiEEvPT_lllll.private_seg_size, 0
	.set _ZN2at6native19triu_indices_kernelIiEEvPT_lllll.uses_vcc, 1
	.set _ZN2at6native19triu_indices_kernelIiEEvPT_lllll.uses_flat_scratch, 0
	.set _ZN2at6native19triu_indices_kernelIiEEvPT_lllll.has_dyn_sized_stack, 0
	.set _ZN2at6native19triu_indices_kernelIiEEvPT_lllll.has_recursion, 0
	.set _ZN2at6native19triu_indices_kernelIiEEvPT_lllll.has_indirect_call, 0
	.section	.AMDGPU.csdata,"",@progbits
; Kernel info:
; codeLenInByte = 2496
; TotalNumSgprs: 32
; NumVgprs: 18
; ScratchSize: 0
; MemoryBound: 0
; FloatMode: 240
; IeeeMode: 1
; LDSByteSize: 0 bytes/workgroup (compile time only)
; SGPRBlocks: 0
; VGPRBlocks: 1
; NumSGPRsForWavesPerEU: 32
; NumVGPRsForWavesPerEU: 18
; NamedBarCnt: 0
; Occupancy: 16
; WaveLimiterHint : 0
; COMPUTE_PGM_RSRC2:SCRATCH_EN: 0
; COMPUTE_PGM_RSRC2:USER_SGPR: 2
; COMPUTE_PGM_RSRC2:TRAP_HANDLER: 0
; COMPUTE_PGM_RSRC2:TGID_X_EN: 1
; COMPUTE_PGM_RSRC2:TGID_Y_EN: 0
; COMPUTE_PGM_RSRC2:TGID_Z_EN: 0
; COMPUTE_PGM_RSRC2:TIDIG_COMP_CNT: 0
	.section	.text._ZN2at6native19triu_indices_kernelIlEEvPT_lllll,"axG",@progbits,_ZN2at6native19triu_indices_kernelIlEEvPT_lllll,comdat
	.protected	_ZN2at6native19triu_indices_kernelIlEEvPT_lllll ; -- Begin function _ZN2at6native19triu_indices_kernelIlEEvPT_lllll
	.globl	_ZN2at6native19triu_indices_kernelIlEEvPT_lllll
	.p2align	8
	.type	_ZN2at6native19triu_indices_kernelIlEEvPT_lllll,@function
_ZN2at6native19triu_indices_kernelIlEEvPT_lllll: ; @_ZN2at6native19triu_indices_kernelIlEEvPT_lllll
; %bb.0:
	s_clause 0x1
	s_load_b32 s2, s[0:1], 0x3c
	s_load_b128 s[12:15], s[0:1], 0x20
	s_bfe_u32 s3, ttmp6, 0x4000c
	s_and_b32 s4, ttmp6, 15
	s_add_co_i32 s3, s3, 1
	s_getreg_b32 s5, hwreg(HW_REG_IB_STS2, 6, 4)
	s_mul_i32 s3, ttmp9, s3
	v_mov_b32_e32 v1, 0
	s_add_co_i32 s4, s4, s3
	s_wait_kmcnt 0x0
	s_and_b32 s2, s2, 0xffff
	s_cmp_eq_u32 s5, 0
	s_cselect_b32 s3, ttmp9, s4
	s_delay_alu instid0(SALU_CYCLE_1) | instskip(SKIP_1) | instid1(VALU_DEP_1)
	v_mad_nc_u64_u32 v[0:1], s2, s3, v[0:1]
	s_mov_b32 s2, exec_lo
	v_cmpx_gt_i64_e64 s[14:15], v[0:1]
	s_cbranch_execz .LBB3_19
; %bb.1:
	s_load_b256 s[4:11], s[0:1], 0x0
                                        ; implicit-def: $vgpr2_vgpr3
                                        ; implicit-def: $vgpr4_vgpr5
	s_wait_xcnt 0x0
	s_mov_b32 s0, exec_lo
	v_cmpx_le_i64_e64 s[12:13], v[0:1]
	s_xor_b32 s18, exec_lo, s0
	s_cbranch_execz .LBB3_12
; %bb.2:
	v_sub_nc_u64_e64 v[2:3], v[0:1], s[12:13]
	s_wait_kmcnt 0x0
	s_lshl_b64 s[0:1], s[8:9], 1
	s_delay_alu instid0(SALU_CYCLE_1) | instskip(SKIP_4) | instid1(VALU_DEP_1)
	s_not_b64 s[2:3], s[0:1]
	s_or_b64 s[0:1], s[0:1], 1
	s_mul_u64 s[2:3], s[2:3], s[2:3]
	v_cvt_f64_i32_e32 v[14:15], s1
	v_lshlrev_b64_e32 v[4:5], 3, v[2:3]
	v_sub_nc_u64_e32 v[6:7], s[2:3], v[4:5]
	s_mov_b32 s2, exec_lo
	s_delay_alu instid0(VALU_DEP_1) | instskip(NEXT) | instid1(VALU_DEP_2)
	v_cvt_f64_i32_e32 v[4:5], v7
	v_cvt_f64_u32_e32 v[8:9], v6
	s_delay_alu instid0(VALU_DEP_2) | instskip(NEXT) | instid1(VALU_DEP_1)
	v_ldexp_f64 v[4:5], v[4:5], 32
	v_add_f64_e32 v[4:5], v[4:5], v[8:9]
	s_delay_alu instid0(VALU_DEP_1) | instskip(SKIP_1) | instid1(VALU_DEP_1)
	v_cmp_gt_f64_e32 vcc_lo, 0x10000000, v[4:5]
	v_cndmask_b32_e64 v8, 0, 0x100, vcc_lo
	v_ldexp_f64 v[4:5], v[4:5], v8
	s_delay_alu instid0(VALU_DEP_1) | instskip(SKIP_1) | instid1(TRANS32_DEP_1)
	v_rsq_f64_e32 v[8:9], v[4:5]
	v_nop
	v_mul_f64_e32 v[10:11], v[4:5], v[8:9]
	v_mul_f64_e32 v[8:9], 0.5, v[8:9]
	s_delay_alu instid0(VALU_DEP_1) | instskip(NEXT) | instid1(VALU_DEP_1)
	v_fma_f64 v[12:13], -v[8:9], v[10:11], 0.5
	v_fmac_f64_e32 v[10:11], v[10:11], v[12:13]
	v_fmac_f64_e32 v[8:9], v[8:9], v[12:13]
	s_delay_alu instid0(VALU_DEP_2) | instskip(NEXT) | instid1(VALU_DEP_1)
	v_fma_f64 v[12:13], -v[10:11], v[10:11], v[4:5]
	v_fmac_f64_e32 v[10:11], v[12:13], v[8:9]
	s_delay_alu instid0(VALU_DEP_1) | instskip(NEXT) | instid1(VALU_DEP_1)
	v_fma_f64 v[12:13], -v[10:11], v[10:11], v[4:5]
	v_fmac_f64_e32 v[10:11], v[12:13], v[8:9]
	v_cvt_f64_u32_e32 v[8:9], s0
	v_ldexp_f64 v[12:13], v[14:15], 32
	v_cndmask_b32_e64 v14, 0, 0xffffff80, vcc_lo
	v_cmp_class_f64_e64 vcc_lo, v[4:5], 0x260
	s_delay_alu instid0(VALU_DEP_2) | instskip(NEXT) | instid1(VALU_DEP_4)
	v_ldexp_f64 v[10:11], v[10:11], v14
	v_add_f64_e32 v[12:13], v[12:13], v[8:9]
	s_delay_alu instid0(VALU_DEP_2) | instskip(NEXT) | instid1(VALU_DEP_1)
	v_dual_cndmask_b32 v9, v11, v5 :: v_dual_cndmask_b32 v8, v10, v4
	v_add_f64_e64 v[4:5], v[12:13], -v[8:9]
	v_mul_f64_e32 v[10:11], v[8:9], v[8:9]
	s_delay_alu instid0(VALU_DEP_2) | instskip(NEXT) | instid1(VALU_DEP_2)
	v_mul_f64_e32 v[4:5], 0.5, v[4:5]
	v_trunc_f64_e32 v[10:11], v[10:11]
	s_delay_alu instid0(VALU_DEP_2) | instskip(NEXT) | instid1(VALU_DEP_2)
	v_floor_f64_e32 v[4:5], v[4:5]
	v_ldexp_f64 v[12:13], v[10:11], 0xffffffe0
	s_delay_alu instid0(VALU_DEP_2) | instskip(NEXT) | instid1(VALU_DEP_2)
	v_ldexp_f64 v[14:15], v[4:5], 0xffffffe0
	v_floor_f64_e32 v[12:13], v[12:13]
	s_delay_alu instid0(VALU_DEP_2) | instskip(NEXT) | instid1(VALU_DEP_2)
	v_floor_f64_e32 v[14:15], v[14:15]
	v_fmac_f64_e32 v[10:11], 0xc1f00000, v[12:13]
	v_cvt_i32_f64_e32 v13, v[12:13]
	s_delay_alu instid0(VALU_DEP_3) | instskip(NEXT) | instid1(VALU_DEP_3)
	v_fmac_f64_e32 v[4:5], 0xc1f00000, v[14:15]
	v_cvt_u32_f64_e32 v12, v[10:11]
	s_delay_alu instid0(VALU_DEP_2) | instskip(SKIP_1) | instid1(VALU_DEP_3)
	v_cvt_u32_f64_e32 v4, v[4:5]
	v_cvt_i32_f64_e32 v5, v[14:15]
	v_cmpx_ne_u64_e64 v[6:7], v[12:13]
	s_cbranch_execz .LBB3_8
; %bb.3:
	v_floor_f64_e32 v[8:9], v[8:9]
	s_delay_alu instid0(VALU_DEP_1) | instskip(NEXT) | instid1(VALU_DEP_1)
	v_ldexp_f64 v[10:11], v[8:9], 0xffffffe0
	v_floor_f64_e32 v[10:11], v[10:11]
	s_delay_alu instid0(VALU_DEP_1) | instskip(SKIP_1) | instid1(VALU_DEP_2)
	v_fmac_f64_e32 v[8:9], 0xc1f00000, v[10:11]
	v_cvt_i32_f64_e32 v11, v[10:11]
	v_cvt_u32_f64_e32 v10, v[8:9]
	s_delay_alu instid0(VALU_DEP_1) | instskip(NEXT) | instid1(VALU_DEP_1)
	v_mul_u64_e32 v[8:9], v[10:11], v[10:11]
	v_sub_nc_u64_e32 v[6:7], v[6:7], v[8:9]
	s_delay_alu instid0(VALU_DEP_1) | instskip(NEXT) | instid1(VALU_DEP_2)
	v_cvt_f64_i32_e32 v[8:9], v7
	v_cvt_f64_u32_e32 v[6:7], v6
	s_delay_alu instid0(VALU_DEP_2) | instskip(NEXT) | instid1(VALU_DEP_1)
	v_ldexp_f64 v[8:9], v[8:9], 32
	v_add_f64_e32 v[6:7], v[8:9], v[6:7]
	s_delay_alu instid0(VALU_DEP_1) | instskip(NEXT) | instid1(VALU_DEP_1)
	v_cmp_gt_f64_e64 s3, 0x10000000, |v[6:7]|
	v_cndmask_b32_e64 v8, 0, 0x100, s3
	s_delay_alu instid0(VALU_DEP_1) | instskip(NEXT) | instid1(VALU_DEP_1)
	v_ldexp_f64 v[6:7], |v[6:7]|, v8
	v_rsq_f64_e32 v[8:9], v[6:7]
	v_cmp_class_f64_e64 vcc_lo, v[6:7], 0x260
	s_delay_alu instid0(TRANS32_DEP_1) | instskip(SKIP_1) | instid1(VALU_DEP_1)
	v_mul_f64_e32 v[10:11], v[6:7], v[8:9]
	v_mul_f64_e32 v[8:9], 0.5, v[8:9]
	v_fma_f64 v[12:13], -v[8:9], v[10:11], 0.5
	s_delay_alu instid0(VALU_DEP_1) | instskip(SKIP_1) | instid1(VALU_DEP_2)
	v_fmac_f64_e32 v[10:11], v[10:11], v[12:13]
	v_fmac_f64_e32 v[8:9], v[8:9], v[12:13]
	v_fma_f64 v[12:13], -v[10:11], v[10:11], v[6:7]
	s_delay_alu instid0(VALU_DEP_1) | instskip(NEXT) | instid1(VALU_DEP_1)
	v_fmac_f64_e32 v[10:11], v[12:13], v[8:9]
	v_fma_f64 v[12:13], -v[10:11], v[10:11], v[6:7]
	s_delay_alu instid0(VALU_DEP_1) | instskip(SKIP_2) | instid1(VALU_DEP_1)
	v_fmac_f64_e32 v[10:11], v[12:13], v[8:9]
	v_cndmask_b32_e64 v8, 0, 0xffffff80, s3
	s_mov_b32 s3, exec_lo
	v_ldexp_f64 v[8:9], v[10:11], v8
	s_delay_alu instid0(VALU_DEP_1) | instskip(NEXT) | instid1(VALU_DEP_1)
	v_dual_cndmask_b32 v7, v9, v7 :: v_dual_cndmask_b32 v6, v8, v6
	v_ceil_f64_e32 v[6:7], v[6:7]
	s_delay_alu instid0(VALU_DEP_1) | instskip(NEXT) | instid1(VALU_DEP_1)
	v_ldexp_f64 v[8:9], v[6:7], 0xffffffe0
	v_floor_f64_e32 v[8:9], v[8:9]
	s_delay_alu instid0(VALU_DEP_1) | instskip(SKIP_1) | instid1(VALU_DEP_2)
	v_fmac_f64_e32 v[6:7], 0xc1f00000, v[8:9]
	v_cvt_i32_f64_e32 v9, v[8:9]
	v_cvt_u32_f64_e32 v8, v[6:7]
	s_delay_alu instid0(VALU_DEP_1) | instskip(SKIP_2) | instid1(VALU_DEP_3)
	v_sub_nc_u64_e32 v[6:7], v[4:5], v[8:9]
	v_cmp_gt_i64_e32 vcc_lo, v[4:5], v[8:9]
	v_add_nc_u64_e32 v[8:9], v[4:5], v[8:9]
	v_dual_cndmask_b32 v5, 0, v7 :: v_dual_cndmask_b32 v4, 0, v6
	s_delay_alu instid0(VALU_DEP_2) | instskip(NEXT) | instid1(VALU_DEP_2)
	v_add_nc_u64_e32 v[6:7], 1, v[8:9]
	v_add_nc_u64_e32 v[8:9], 1, v[4:5]
	s_delay_alu instid0(VALU_DEP_1)
	v_cmpx_lt_i64_e64 v[8:9], v[6:7]
	s_cbranch_execz .LBB3_7
; %bb.4:
	v_lshlrev_b64_e32 v[8:9], 1, v[2:3]
	s_mov_b32 s8, 0
.LBB3_5:                                ; =>This Inner Loop Header: Depth=1
	v_add_nc_u64_e32 v[10:11], v[4:5], v[6:7]
	s_delay_alu instid0(VALU_DEP_1) | instskip(NEXT) | instid1(VALU_DEP_1)
	v_ashrrev_i64 v[10:11], 1, v[10:11]
	v_sub_nc_u64_e32 v[12:13], s[0:1], v[10:11]
	s_delay_alu instid0(VALU_DEP_1) | instskip(NEXT) | instid1(VALU_DEP_1)
	v_mul_u64_e32 v[12:13], v[12:13], v[10:11]
	v_cmp_gt_i64_e32 vcc_lo, v[12:13], v[8:9]
	v_dual_cndmask_b32 v5, v11, v5 :: v_dual_cndmask_b32 v4, v10, v4
	v_dual_cndmask_b32 v7, v7, v11 :: v_dual_cndmask_b32 v6, v6, v10
	s_delay_alu instid0(VALU_DEP_2) | instskip(NEXT) | instid1(VALU_DEP_1)
	v_add_nc_u64_e32 v[12:13], 1, v[4:5]
	v_cmp_ge_i64_e32 vcc_lo, v[12:13], v[6:7]
	s_or_b32 s8, vcc_lo, s8
	s_delay_alu instid0(SALU_CYCLE_1)
	s_and_not1_b32 exec_lo, exec_lo, s8
	s_cbranch_execnz .LBB3_5
; %bb.6:
	s_or_b32 exec_lo, exec_lo, s8
.LBB3_7:
	s_delay_alu instid0(SALU_CYCLE_1)
	s_or_b32 exec_lo, exec_lo, s3
.LBB3_8:
	s_delay_alu instid0(SALU_CYCLE_1) | instskip(SKIP_1) | instid1(SALU_CYCLE_1)
	s_or_b32 exec_lo, exec_lo, s2
	s_or_b64 s[2:3], s[12:13], s[10:11]
	s_and_b64 s[2:3], s[2:3], 0xffffffff00000000
	s_delay_alu instid0(SALU_CYCLE_1)
	s_cmp_lg_u64 s[2:3], 0
	s_cbranch_scc0 .LBB3_20
; %bb.9:
	s_ashr_i32 s2, s11, 31
	s_delay_alu instid0(SALU_CYCLE_1) | instskip(NEXT) | instid1(SALU_CYCLE_1)
	s_mov_b32 s3, s2
	s_add_nc_u64 s[8:9], s[10:11], s[2:3]
	s_delay_alu instid0(SALU_CYCLE_1) | instskip(NEXT) | instid1(SALU_CYCLE_1)
	s_xor_b64 s[8:9], s[8:9], s[2:3]
	s_cvt_f32_u32 s16, s8
	s_cvt_f32_u32 s17, s9
	s_sub_nc_u64 s[22:23], 0, s[8:9]
	s_delay_alu instid0(SALU_CYCLE_2) | instskip(NEXT) | instid1(SALU_CYCLE_3)
	s_fmamk_f32 s16, s17, 0x4f800000, s16
	v_s_rcp_f32 s16, s16
	s_delay_alu instid0(TRANS32_DEP_1) | instskip(NEXT) | instid1(SALU_CYCLE_3)
	s_mul_f32 s16, s16, 0x5f7ffffc
	s_mul_f32 s17, s16, 0x2f800000
	s_delay_alu instid0(SALU_CYCLE_3) | instskip(NEXT) | instid1(SALU_CYCLE_3)
	s_trunc_f32 s17, s17
	s_fmamk_f32 s16, s17, 0xcf800000, s16
	s_cvt_u32_f32 s21, s17
	s_mov_b32 s17, 0
	s_delay_alu instid0(SALU_CYCLE_1) | instskip(NEXT) | instid1(SALU_CYCLE_3)
	s_cvt_u32_f32 s20, s16
	s_mul_u64 s[24:25], s[22:23], s[20:21]
	s_delay_alu instid0(SALU_CYCLE_1)
	s_mul_hi_u32 s27, s20, s25
	s_mul_i32 s26, s20, s25
	s_mul_hi_u32 s16, s20, s24
	s_mul_i32 s28, s21, s24
	s_add_nc_u64 s[26:27], s[16:17], s[26:27]
	s_mul_hi_u32 s19, s21, s24
	s_mul_hi_u32 s29, s21, s25
	s_add_co_u32 s16, s26, s28
	s_add_co_ci_u32 s16, s27, s19
	s_mul_i32 s24, s21, s25
	s_add_co_ci_u32 s25, s29, 0
	s_delay_alu instid0(SALU_CYCLE_1) | instskip(NEXT) | instid1(SALU_CYCLE_1)
	s_add_nc_u64 s[24:25], s[16:17], s[24:25]
	s_add_co_u32 s20, s20, s24
	s_cselect_b32 s16, -1, 0
	s_delay_alu instid0(SALU_CYCLE_1) | instskip(SKIP_1) | instid1(SALU_CYCLE_1)
	s_cmp_lg_u32 s16, 0
	s_add_co_ci_u32 s21, s21, s25
	s_mul_u64 s[22:23], s[22:23], s[20:21]
	s_delay_alu instid0(SALU_CYCLE_1)
	s_mul_hi_u32 s25, s20, s23
	s_mul_i32 s24, s20, s23
	s_mul_hi_u32 s16, s20, s22
	s_mul_i32 s26, s21, s22
	s_add_nc_u64 s[24:25], s[16:17], s[24:25]
	s_mul_hi_u32 s19, s21, s22
	s_mul_hi_u32 s27, s21, s23
	s_add_co_u32 s16, s24, s26
	s_add_co_ci_u32 s16, s25, s19
	s_mul_i32 s22, s21, s23
	s_add_co_ci_u32 s23, s27, 0
	s_delay_alu instid0(SALU_CYCLE_1) | instskip(NEXT) | instid1(SALU_CYCLE_1)
	s_add_nc_u64 s[22:23], s[16:17], s[22:23]
	s_add_co_u32 s19, s20, s22
	s_cselect_b32 s16, -1, 0
	s_delay_alu instid0(SALU_CYCLE_1) | instskip(SKIP_2) | instid1(SALU_CYCLE_1)
	s_cmp_lg_u32 s16, 0
	s_add_co_ci_u32 s26, s21, s23
	s_ashr_i32 s20, s13, 31
	s_mov_b32 s21, s20
	s_delay_alu instid0(SALU_CYCLE_1) | instskip(NEXT) | instid1(SALU_CYCLE_1)
	s_add_nc_u64 s[22:23], s[12:13], s[20:21]
	s_xor_b64 s[22:23], s[22:23], s[20:21]
	s_delay_alu instid0(SALU_CYCLE_1)
	s_mul_hi_u32 s25, s22, s26
	s_mul_i32 s24, s22, s26
	s_mul_hi_u32 s16, s22, s19
	s_mul_hi_u32 s27, s23, s19
	s_mul_i32 s19, s23, s19
	s_add_nc_u64 s[24:25], s[16:17], s[24:25]
	s_mul_hi_u32 s13, s23, s26
	s_add_co_u32 s16, s24, s19
	s_add_co_ci_u32 s16, s25, s27
	s_mul_i32 s26, s23, s26
	s_add_co_ci_u32 s27, s13, 0
	s_delay_alu instid0(SALU_CYCLE_1) | instskip(NEXT) | instid1(SALU_CYCLE_1)
	s_add_nc_u64 s[24:25], s[16:17], s[26:27]
	s_and_b64 s[26:27], s[24:25], 0xffffffff00000000
	s_delay_alu instid0(SALU_CYCLE_1) | instskip(NEXT) | instid1(SALU_CYCLE_1)
	s_or_b32 s26, s26, s24
	s_mul_u64 s[24:25], s[8:9], s[26:27]
	s_add_nc_u64 s[28:29], s[26:27], 1
	s_sub_co_u32 s13, s22, s24
	s_cselect_b32 s16, -1, 0
	s_sub_co_i32 s19, s23, s25
	s_cmp_lg_u32 s16, 0
	s_add_nc_u64 s[30:31], s[26:27], 2
	s_sub_co_ci_u32 s19, s19, s9
	s_sub_co_u32 s22, s13, s8
	s_cselect_b32 s24, -1, 0
	s_delay_alu instid0(SALU_CYCLE_1) | instskip(SKIP_1) | instid1(SALU_CYCLE_1)
	s_cmp_lg_u32 s24, 0
	s_sub_co_ci_u32 s19, s19, 0
	s_cmp_ge_u32 s19, s9
	s_cselect_b32 s24, -1, 0
	s_cmp_ge_u32 s22, s8
	s_cselect_b32 s22, -1, 0
	s_cmp_eq_u32 s19, s9
	s_cselect_b32 s19, s22, s24
	s_delay_alu instid0(SALU_CYCLE_1) | instskip(SKIP_4) | instid1(SALU_CYCLE_1)
	s_cmp_lg_u32 s19, 0
	s_cselect_b32 s19, s30, s28
	s_cselect_b32 s22, s31, s29
	s_cmp_lg_u32 s16, 0
	s_sub_co_ci_u32 s16, s23, s25
	s_cmp_ge_u32 s16, s9
	s_cselect_b32 s23, -1, 0
	s_cmp_ge_u32 s13, s8
	s_cselect_b32 s8, -1, 0
	s_cmp_eq_u32 s16, s9
	s_cselect_b32 s8, s8, s23
	s_delay_alu instid0(SALU_CYCLE_1) | instskip(SKIP_3) | instid1(SALU_CYCLE_1)
	s_cmp_lg_u32 s8, 0
	s_cselect_b32 s9, s22, s27
	s_cselect_b32 s8, s19, s26
	s_xor_b64 s[2:3], s[20:21], s[2:3]
	s_xor_b64 s[8:9], s[8:9], s[2:3]
	s_delay_alu instid0(SALU_CYCLE_1)
	s_sub_nc_u64 s[2:3], s[8:9], s[2:3]
	s_cbranch_execnz .LBB3_11
.LBB3_10:
	v_cvt_f32_u32_e32 v6, s10
	s_sub_co_i32 s3, 0, s10
	s_delay_alu instid0(VALU_DEP_1) | instskip(SKIP_1) | instid1(TRANS32_DEP_1)
	v_rcp_iflag_f32_e32 v6, v6
	v_nop
	v_mul_f32_e32 v6, 0x4f7ffffe, v6
	s_delay_alu instid0(VALU_DEP_1) | instskip(NEXT) | instid1(VALU_DEP_1)
	v_cvt_u32_f32_e32 v6, v6
	v_readfirstlane_b32 s2, v6
	s_mul_i32 s3, s3, s2
	s_delay_alu instid0(SALU_CYCLE_1) | instskip(NEXT) | instid1(SALU_CYCLE_1)
	s_mul_hi_u32 s3, s2, s3
	s_add_co_i32 s2, s2, s3
	s_delay_alu instid0(SALU_CYCLE_1) | instskip(NEXT) | instid1(SALU_CYCLE_1)
	s_mul_hi_u32 s2, s12, s2
	s_mul_i32 s3, s2, s10
	s_add_co_i32 s8, s2, 1
	s_sub_co_i32 s3, s12, s3
	s_delay_alu instid0(SALU_CYCLE_1)
	s_sub_co_i32 s9, s3, s10
	s_cmp_ge_u32 s3, s10
	s_cselect_b32 s2, s8, s2
	s_cselect_b32 s3, s9, s3
	s_add_co_i32 s8, s2, 1
	s_cmp_ge_u32 s3, s10
	s_mov_b32 s3, 0
	s_cselect_b32 s2, s8, s2
.LBB3_11:
	v_sub_nc_u64_e32 v[6:7], s[0:1], v[4:5]
	v_add_nc_u64_e32 v[2:3], v[4:5], v[2:3]
	s_delay_alu instid0(VALU_DEP_2) | instskip(SKIP_1) | instid1(VALU_DEP_2)
	v_mul_u64_e32 v[6:7], v[6:7], v[4:5]
	v_add_nc_u64_e32 v[4:5], s[2:3], v[4:5]
	v_ashrrev_i64 v[6:7], 1, v[6:7]
	s_delay_alu instid0(VALU_DEP_1)
	v_sub_nc_u64_e32 v[2:3], v[2:3], v[6:7]
.LBB3_12:
	s_and_not1_saveexec_b32 s1, s18
	s_cbranch_execz .LBB3_18
; %bb.13:
	s_wait_kmcnt 0x0
	v_dual_mov_b32 v2, 0 :: v_dual_bitop2_b32 v3, s11, v1 bitop3:0x54
                                        ; implicit-def: $vgpr4_vgpr5
	s_mov_b32 s0, exec_lo
	s_delay_alu instid0(VALU_DEP_1)
	v_cmpx_ne_u64_e32 0, v[2:3]
	s_xor_b32 s12, exec_lo, s0
	s_cbranch_execz .LBB3_15
; %bb.14:
	s_ashr_i32 s2, s11, 31
	s_mov_b32 s23, 0
	s_mov_b32 s3, s2
	v_dual_mov_b32 v9, v2 :: v_dual_ashrrev_i32 v4, 31, v1
	s_add_nc_u64 s[8:9], s[10:11], s[2:3]
	v_dual_mov_b32 v17, v2 :: v_dual_mov_b32 v3, v2
	s_xor_b64 s[8:9], s[8:9], s[2:3]
	s_delay_alu instid0(VALU_DEP_2) | instskip(SKIP_3) | instid1(VALU_DEP_1)
	v_mov_b32_e32 v5, v4
	s_cvt_f32_u32 s0, s8
	s_cvt_f32_u32 s3, s9
	s_sub_nc_u64 s[18:19], 0, s[8:9]
	v_add_nc_u64_e32 v[6:7], v[0:1], v[4:5]
	s_delay_alu instid0(SALU_CYCLE_1) | instskip(SKIP_1) | instid1(SALU_CYCLE_2)
	s_fmamk_f32 s0, s3, 0x4f800000, s0
	v_mov_b32_e32 v11, v2
	v_s_rcp_f32 s0, s0
	s_delay_alu instid0(VALU_DEP_2) | instskip(NEXT) | instid1(VALU_DEP_3)
	v_xor_b32_e32 v8, v6, v4
	v_xor_b32_e32 v10, v7, v4
	;; [unrolled: 1-line block ×3, first 2 shown]
	s_delay_alu instid0(TRANS32_DEP_1) | instskip(NEXT) | instid1(SALU_CYCLE_3)
	s_mul_f32 s0, s0, 0x5f7ffffc
	s_mul_f32 s3, s0, 0x2f800000
	s_delay_alu instid0(SALU_CYCLE_3) | instskip(NEXT) | instid1(SALU_CYCLE_3)
	s_trunc_f32 s3, s3
	s_fmamk_f32 s0, s3, 0xcf800000, s0
	s_cvt_u32_f32 s17, s3
	s_delay_alu instid0(SALU_CYCLE_2) | instskip(NEXT) | instid1(SALU_CYCLE_3)
	s_cvt_u32_f32 s16, s0
	s_mul_u64 s[20:21], s[18:19], s[16:17]
	s_delay_alu instid0(SALU_CYCLE_1)
	s_mul_hi_u32 s25, s16, s21
	s_mul_i32 s24, s16, s21
	s_mul_hi_u32 s22, s16, s20
	s_mul_i32 s3, s17, s20
	s_add_nc_u64 s[24:25], s[22:23], s[24:25]
	s_mul_hi_u32 s0, s17, s20
	s_mul_hi_u32 s13, s17, s21
	s_add_co_u32 s3, s24, s3
	s_add_co_ci_u32 s22, s25, s0
	s_mul_i32 s20, s17, s21
	s_add_co_ci_u32 s21, s13, 0
	s_delay_alu instid0(SALU_CYCLE_1) | instskip(NEXT) | instid1(SALU_CYCLE_1)
	s_add_nc_u64 s[20:21], s[22:23], s[20:21]
	s_add_co_u32 s16, s16, s20
	s_cselect_b32 s0, -1, 0
	s_delay_alu instid0(SALU_CYCLE_1) | instskip(SKIP_1) | instid1(SALU_CYCLE_1)
	s_cmp_lg_u32 s0, 0
	s_add_co_ci_u32 s17, s17, s21
	s_mul_u64 s[18:19], s[18:19], s[16:17]
	s_delay_alu instid0(SALU_CYCLE_1)
	s_mul_hi_u32 s21, s16, s19
	s_mul_i32 s20, s16, s19
	s_mul_hi_u32 s22, s16, s18
	s_mul_i32 s3, s17, s18
	s_add_nc_u64 s[20:21], s[22:23], s[20:21]
	s_mul_hi_u32 s0, s17, s18
	s_mul_hi_u32 s13, s17, s19
	s_add_co_u32 s3, s20, s3
	s_add_co_ci_u32 s22, s21, s0
	s_mul_i32 s18, s17, s19
	s_add_co_ci_u32 s19, s13, 0
	s_delay_alu instid0(SALU_CYCLE_1) | instskip(NEXT) | instid1(SALU_CYCLE_1)
	s_add_nc_u64 s[18:19], s[22:23], s[18:19]
	s_add_co_u32 s0, s16, s18
	s_cselect_b32 s3, -1, 0
	v_mul_hi_u32 v16, v8, s0
	s_cmp_lg_u32 s3, 0
	s_add_co_ci_u32 s22, s17, s19
	s_mov_b64 s[16:17], 0xffffffff
	v_mul_u64_e32 v[12:13], s[22:23], v[8:9]
	s_and_b64 s[16:17], s[0:1], s[16:17]
	v_mul_u64_e32 v[14:15], s[22:23], v[10:11]
	v_mul_u64_e32 v[6:7], s[16:17], v[10:11]
	s_delay_alu instid0(VALU_DEP_3) | instskip(NEXT) | instid1(VALU_DEP_1)
	v_add_nc_u64_e32 v[12:13], v[16:17], v[12:13]
	v_add_co_u32 v2, vcc_lo, v12, v6
	s_delay_alu instid0(VALU_DEP_2) | instskip(SKIP_1) | instid1(VALU_DEP_1)
	v_add_co_ci_u32_e32 v2, vcc_lo, v13, v7, vcc_lo
	v_add_co_ci_u32_e32 v15, vcc_lo, 0, v15, vcc_lo
	v_add_nc_u64_e32 v[2:3], v[2:3], v[14:15]
	s_delay_alu instid0(VALU_DEP_1) | instskip(NEXT) | instid1(VALU_DEP_1)
	v_mul_u64_e32 v[6:7], s[8:9], v[2:3]
	v_sub_nc_u32_e32 v5, v10, v7
	s_delay_alu instid0(VALU_DEP_2) | instskip(NEXT) | instid1(VALU_DEP_1)
	v_sub_co_u32 v6, vcc_lo, v8, v6
	v_sub_co_ci_u32_e64 v10, null, v10, v7, vcc_lo
	s_delay_alu instid0(VALU_DEP_3) | instskip(NEXT) | instid1(VALU_DEP_3)
	v_subrev_co_ci_u32_e64 v5, null, s9, v5, vcc_lo
	v_sub_co_u32 v8, s0, v6, s8
	s_delay_alu instid0(VALU_DEP_1) | instskip(NEXT) | instid1(VALU_DEP_2)
	v_subrev_co_ci_u32_e64 v5, null, 0, v5, s0
	v_cmp_le_u32_e32 vcc_lo, s8, v8
	v_cndmask_b32_e64 v7, 0, -1, vcc_lo
	s_delay_alu instid0(VALU_DEP_3)
	v_cmp_le_u32_e32 vcc_lo, s9, v5
	v_cndmask_b32_e64 v8, 0, -1, vcc_lo
	v_cmp_le_u32_e32 vcc_lo, s8, v6
	v_cndmask_b32_e64 v11, 0, -1, vcc_lo
	;; [unrolled: 2-line block ×3, first 2 shown]
	v_cmp_eq_u32_e32 vcc_lo, s9, v5
	v_cndmask_b32_e32 v5, v8, v7, vcc_lo
	v_cmp_eq_u32_e32 vcc_lo, s9, v10
	v_add_nc_u64_e32 v[6:7], 2, v[2:3]
	v_add_nc_u64_e32 v[8:9], 1, v[2:3]
	v_cndmask_b32_e32 v10, v12, v11, vcc_lo
	v_cmp_ne_u32_e32 vcc_lo, 0, v5
	s_delay_alu instid0(VALU_DEP_2) | instskip(NEXT) | instid1(VALU_DEP_4)
	v_cmp_ne_u32_e64 s0, 0, v10
	v_dual_cndmask_b32 v6, v8, v6 :: v_dual_cndmask_b32 v5, v9, v7
	s_delay_alu instid0(VALU_DEP_1) | instskip(NEXT) | instid1(VALU_DEP_1)
	v_dual_cndmask_b32 v2, v2, v6, s0 :: v_dual_cndmask_b32 v3, v3, v5, s0
	v_dual_mov_b32 v5, v4 :: v_dual_bitop2_b32 v2, v2, v4 bitop3:0x14
	s_delay_alu instid0(VALU_DEP_2) | instskip(NEXT) | instid1(VALU_DEP_1)
	v_xor_b32_e32 v3, v3, v4
	v_sub_nc_u64_e32 v[4:5], v[2:3], v[4:5]
.LBB3_15:
	s_and_not1_saveexec_b32 s0, s12
	s_cbranch_execz .LBB3_17
; %bb.16:
	v_cvt_f32_u32_e32 v2, s10
	s_sub_co_i32 s2, 0, s10
	s_delay_alu instid0(VALU_DEP_1) | instskip(SKIP_1) | instid1(TRANS32_DEP_1)
	v_rcp_iflag_f32_e32 v2, v2
	v_nop
	v_mul_f32_e32 v2, 0x4f7ffffe, v2
	s_delay_alu instid0(VALU_DEP_1) | instskip(NEXT) | instid1(VALU_DEP_1)
	v_cvt_u32_f32_e32 v2, v2
	v_mul_lo_u32 v3, s2, v2
	s_delay_alu instid0(VALU_DEP_1) | instskip(NEXT) | instid1(VALU_DEP_1)
	v_mul_hi_u32 v3, v2, v3
	v_add_nc_u32_e32 v2, v2, v3
	s_delay_alu instid0(VALU_DEP_1) | instskip(NEXT) | instid1(VALU_DEP_1)
	v_mul_hi_u32 v2, v0, v2
	v_mul_lo_u32 v3, v2, s10
	s_delay_alu instid0(VALU_DEP_1) | instskip(NEXT) | instid1(VALU_DEP_1)
	v_dual_add_nc_u32 v4, 1, v2 :: v_dual_sub_nc_u32 v3, v0, v3
	v_subrev_nc_u32_e32 v5, s10, v3
	v_cmp_le_u32_e32 vcc_lo, s10, v3
	s_delay_alu instid0(VALU_DEP_2) | instskip(NEXT) | instid1(VALU_DEP_4)
	v_dual_cndmask_b32 v3, v3, v5, vcc_lo :: v_dual_mov_b32 v5, 0
	v_cndmask_b32_e32 v2, v2, v4, vcc_lo
	s_delay_alu instid0(VALU_DEP_2) | instskip(NEXT) | instid1(VALU_DEP_2)
	v_cmp_le_u32_e32 vcc_lo, s10, v3
	v_add_nc_u32_e32 v4, 1, v2
	s_delay_alu instid0(VALU_DEP_1)
	v_cndmask_b32_e32 v4, v2, v4, vcc_lo
.LBB3_17:
	s_or_b32 exec_lo, exec_lo, s0
	s_delay_alu instid0(VALU_DEP_1) | instskip(NEXT) | instid1(VALU_DEP_1)
	v_mul_u64_e32 v[2:3], s[10:11], v[4:5]
	v_sub_nc_u64_e32 v[2:3], v[0:1], v[2:3]
.LBB3_18:
	s_or_b32 exec_lo, exec_lo, s1
	s_wait_kmcnt 0x0
	v_lshl_add_u64 v[0:1], v[0:1], 3, s[4:5]
	s_delay_alu instid0(VALU_DEP_2) | instskip(NEXT) | instid1(VALU_DEP_2)
	v_add_nc_u64_e32 v[2:3], s[6:7], v[2:3]
	v_lshl_add_u64 v[6:7], s[14:15], 3, v[0:1]
	s_clause 0x1
	global_store_b64 v[0:1], v[4:5], off
	global_store_b64 v[6:7], v[2:3], off
.LBB3_19:
	s_endpgm
.LBB3_20:
                                        ; implicit-def: $sgpr2_sgpr3
	s_branch .LBB3_10
	.section	.rodata,"a",@progbits
	.p2align	6, 0x0
	.amdhsa_kernel _ZN2at6native19triu_indices_kernelIlEEvPT_lllll
		.amdhsa_group_segment_fixed_size 0
		.amdhsa_private_segment_fixed_size 0
		.amdhsa_kernarg_size 304
		.amdhsa_user_sgpr_count 2
		.amdhsa_user_sgpr_dispatch_ptr 0
		.amdhsa_user_sgpr_queue_ptr 0
		.amdhsa_user_sgpr_kernarg_segment_ptr 1
		.amdhsa_user_sgpr_dispatch_id 0
		.amdhsa_user_sgpr_kernarg_preload_length 0
		.amdhsa_user_sgpr_kernarg_preload_offset 0
		.amdhsa_user_sgpr_private_segment_size 0
		.amdhsa_wavefront_size32 1
		.amdhsa_uses_dynamic_stack 0
		.amdhsa_enable_private_segment 0
		.amdhsa_system_sgpr_workgroup_id_x 1
		.amdhsa_system_sgpr_workgroup_id_y 0
		.amdhsa_system_sgpr_workgroup_id_z 0
		.amdhsa_system_sgpr_workgroup_info 0
		.amdhsa_system_vgpr_workitem_id 0
		.amdhsa_next_free_vgpr 18
		.amdhsa_next_free_sgpr 32
		.amdhsa_named_barrier_count 0
		.amdhsa_reserve_vcc 1
		.amdhsa_float_round_mode_32 0
		.amdhsa_float_round_mode_16_64 0
		.amdhsa_float_denorm_mode_32 3
		.amdhsa_float_denorm_mode_16_64 3
		.amdhsa_fp16_overflow 0
		.amdhsa_memory_ordered 1
		.amdhsa_forward_progress 1
		.amdhsa_inst_pref_size 20
		.amdhsa_round_robin_scheduling 0
		.amdhsa_exception_fp_ieee_invalid_op 0
		.amdhsa_exception_fp_denorm_src 0
		.amdhsa_exception_fp_ieee_div_zero 0
		.amdhsa_exception_fp_ieee_overflow 0
		.amdhsa_exception_fp_ieee_underflow 0
		.amdhsa_exception_fp_ieee_inexact 0
		.amdhsa_exception_int_div_zero 0
	.end_amdhsa_kernel
	.section	.text._ZN2at6native19triu_indices_kernelIlEEvPT_lllll,"axG",@progbits,_ZN2at6native19triu_indices_kernelIlEEvPT_lllll,comdat
.Lfunc_end3:
	.size	_ZN2at6native19triu_indices_kernelIlEEvPT_lllll, .Lfunc_end3-_ZN2at6native19triu_indices_kernelIlEEvPT_lllll
                                        ; -- End function
	.set _ZN2at6native19triu_indices_kernelIlEEvPT_lllll.num_vgpr, 18
	.set _ZN2at6native19triu_indices_kernelIlEEvPT_lllll.num_agpr, 0
	.set _ZN2at6native19triu_indices_kernelIlEEvPT_lllll.numbered_sgpr, 32
	.set _ZN2at6native19triu_indices_kernelIlEEvPT_lllll.num_named_barrier, 0
	.set _ZN2at6native19triu_indices_kernelIlEEvPT_lllll.private_seg_size, 0
	.set _ZN2at6native19triu_indices_kernelIlEEvPT_lllll.uses_vcc, 1
	.set _ZN2at6native19triu_indices_kernelIlEEvPT_lllll.uses_flat_scratch, 0
	.set _ZN2at6native19triu_indices_kernelIlEEvPT_lllll.has_dyn_sized_stack, 0
	.set _ZN2at6native19triu_indices_kernelIlEEvPT_lllll.has_recursion, 0
	.set _ZN2at6native19triu_indices_kernelIlEEvPT_lllll.has_indirect_call, 0
	.section	.AMDGPU.csdata,"",@progbits
; Kernel info:
; codeLenInByte = 2496
; TotalNumSgprs: 34
; NumVgprs: 18
; ScratchSize: 0
; MemoryBound: 0
; FloatMode: 240
; IeeeMode: 1
; LDSByteSize: 0 bytes/workgroup (compile time only)
; SGPRBlocks: 0
; VGPRBlocks: 1
; NumSGPRsForWavesPerEU: 34
; NumVGPRsForWavesPerEU: 18
; NamedBarCnt: 0
; Occupancy: 16
; WaveLimiterHint : 0
; COMPUTE_PGM_RSRC2:SCRATCH_EN: 0
; COMPUTE_PGM_RSRC2:USER_SGPR: 2
; COMPUTE_PGM_RSRC2:TRAP_HANDLER: 0
; COMPUTE_PGM_RSRC2:TGID_X_EN: 1
; COMPUTE_PGM_RSRC2:TGID_Y_EN: 0
; COMPUTE_PGM_RSRC2:TGID_Z_EN: 0
; COMPUTE_PGM_RSRC2:TIDIG_COMP_CNT: 0
	.section	.AMDGPU.gpr_maximums,"",@progbits
	.set amdgpu.max_num_vgpr, 0
	.set amdgpu.max_num_agpr, 0
	.set amdgpu.max_num_sgpr, 0
	.section	.AMDGPU.csdata,"",@progbits
	.type	__hip_cuid_ddd697f5ca254f8d,@object ; @__hip_cuid_ddd697f5ca254f8d
	.section	.bss,"aw",@nobits
	.globl	__hip_cuid_ddd697f5ca254f8d
__hip_cuid_ddd697f5ca254f8d:
	.byte	0                               ; 0x0
	.size	__hip_cuid_ddd697f5ca254f8d, 1

	.ident	"AMD clang version 22.0.0git (https://github.com/RadeonOpenCompute/llvm-project roc-7.2.4 26084 f58b06dce1f9c15707c5f808fd002e18c2accf7e)"
	.section	".note.GNU-stack","",@progbits
	.addrsig
	.addrsig_sym __hip_cuid_ddd697f5ca254f8d
	.amdgpu_metadata
---
amdhsa.kernels:
  - .args:
      - .address_space:  global
        .offset:         0
        .size:           8
        .value_kind:     global_buffer
      - .offset:         8
        .size:           8
        .value_kind:     by_value
      - .offset:         16
        .size:           8
        .value_kind:     by_value
      - .offset:         24
        .size:           8
        .value_kind:     by_value
      - .offset:         32
        .size:           8
        .value_kind:     by_value
      - .offset:         40
        .size:           8
        .value_kind:     by_value
      - .offset:         48
        .size:           4
        .value_kind:     hidden_block_count_x
      - .offset:         52
        .size:           4
        .value_kind:     hidden_block_count_y
      - .offset:         56
        .size:           4
        .value_kind:     hidden_block_count_z
      - .offset:         60
        .size:           2
        .value_kind:     hidden_group_size_x
      - .offset:         62
        .size:           2
        .value_kind:     hidden_group_size_y
      - .offset:         64
        .size:           2
        .value_kind:     hidden_group_size_z
      - .offset:         66
        .size:           2
        .value_kind:     hidden_remainder_x
      - .offset:         68
        .size:           2
        .value_kind:     hidden_remainder_y
      - .offset:         70
        .size:           2
        .value_kind:     hidden_remainder_z
      - .offset:         88
        .size:           8
        .value_kind:     hidden_global_offset_x
      - .offset:         96
        .size:           8
        .value_kind:     hidden_global_offset_y
      - .offset:         104
        .size:           8
        .value_kind:     hidden_global_offset_z
      - .offset:         112
        .size:           2
        .value_kind:     hidden_grid_dims
    .group_segment_fixed_size: 0
    .kernarg_segment_align: 8
    .kernarg_segment_size: 304
    .language:       OpenCL C
    .language_version:
      - 2
      - 0
    .max_flat_workgroup_size: 512
    .name:           _ZN2at6native19tril_indices_kernelIiEEvPT_lllll
    .private_segment_fixed_size: 0
    .sgpr_count:     29
    .sgpr_spill_count: 0
    .symbol:         _ZN2at6native19tril_indices_kernelIiEEvPT_lllll.kd
    .uniform_work_group_size: 1
    .uses_dynamic_stack: false
    .vgpr_count:     20
    .vgpr_spill_count: 0
    .wavefront_size: 32
  - .args:
      - .address_space:  global
        .offset:         0
        .size:           8
        .value_kind:     global_buffer
      - .offset:         8
        .size:           8
        .value_kind:     by_value
      - .offset:         16
        .size:           8
        .value_kind:     by_value
      - .offset:         24
        .size:           8
        .value_kind:     by_value
      - .offset:         32
        .size:           8
        .value_kind:     by_value
      - .offset:         40
        .size:           8
        .value_kind:     by_value
      - .offset:         48
        .size:           4
        .value_kind:     hidden_block_count_x
      - .offset:         52
        .size:           4
        .value_kind:     hidden_block_count_y
      - .offset:         56
        .size:           4
        .value_kind:     hidden_block_count_z
      - .offset:         60
        .size:           2
        .value_kind:     hidden_group_size_x
      - .offset:         62
        .size:           2
        .value_kind:     hidden_group_size_y
      - .offset:         64
        .size:           2
        .value_kind:     hidden_group_size_z
      - .offset:         66
        .size:           2
        .value_kind:     hidden_remainder_x
      - .offset:         68
        .size:           2
        .value_kind:     hidden_remainder_y
      - .offset:         70
        .size:           2
        .value_kind:     hidden_remainder_z
      - .offset:         88
        .size:           8
        .value_kind:     hidden_global_offset_x
      - .offset:         96
        .size:           8
        .value_kind:     hidden_global_offset_y
      - .offset:         104
        .size:           8
        .value_kind:     hidden_global_offset_z
      - .offset:         112
        .size:           2
        .value_kind:     hidden_grid_dims
    .group_segment_fixed_size: 0
    .kernarg_segment_align: 8
    .kernarg_segment_size: 304
    .language:       OpenCL C
    .language_version:
      - 2
      - 0
    .max_flat_workgroup_size: 512
    .name:           _ZN2at6native19tril_indices_kernelIlEEvPT_lllll
    .private_segment_fixed_size: 0
    .sgpr_count:     30
    .sgpr_spill_count: 0
    .symbol:         _ZN2at6native19tril_indices_kernelIlEEvPT_lllll.kd
    .uniform_work_group_size: 1
    .uses_dynamic_stack: false
    .vgpr_count:     20
    .vgpr_spill_count: 0
    .wavefront_size: 32
  - .args:
      - .address_space:  global
        .offset:         0
        .size:           8
        .value_kind:     global_buffer
      - .offset:         8
        .size:           8
        .value_kind:     by_value
      - .offset:         16
        .size:           8
        .value_kind:     by_value
      - .offset:         24
        .size:           8
        .value_kind:     by_value
      - .offset:         32
        .size:           8
        .value_kind:     by_value
      - .offset:         40
        .size:           8
        .value_kind:     by_value
      - .offset:         48
        .size:           4
        .value_kind:     hidden_block_count_x
      - .offset:         52
        .size:           4
        .value_kind:     hidden_block_count_y
      - .offset:         56
        .size:           4
        .value_kind:     hidden_block_count_z
      - .offset:         60
        .size:           2
        .value_kind:     hidden_group_size_x
      - .offset:         62
        .size:           2
        .value_kind:     hidden_group_size_y
      - .offset:         64
        .size:           2
        .value_kind:     hidden_group_size_z
      - .offset:         66
        .size:           2
        .value_kind:     hidden_remainder_x
      - .offset:         68
        .size:           2
        .value_kind:     hidden_remainder_y
      - .offset:         70
        .size:           2
        .value_kind:     hidden_remainder_z
      - .offset:         88
        .size:           8
        .value_kind:     hidden_global_offset_x
      - .offset:         96
        .size:           8
        .value_kind:     hidden_global_offset_y
      - .offset:         104
        .size:           8
        .value_kind:     hidden_global_offset_z
      - .offset:         112
        .size:           2
        .value_kind:     hidden_grid_dims
    .group_segment_fixed_size: 0
    .kernarg_segment_align: 8
    .kernarg_segment_size: 304
    .language:       OpenCL C
    .language_version:
      - 2
      - 0
    .max_flat_workgroup_size: 1024
    .name:           _ZN2at6native19triu_indices_kernelIiEEvPT_lllll
    .private_segment_fixed_size: 0
    .sgpr_count:     32
    .sgpr_spill_count: 0
    .symbol:         _ZN2at6native19triu_indices_kernelIiEEvPT_lllll.kd
    .uniform_work_group_size: 1
    .uses_dynamic_stack: false
    .vgpr_count:     18
    .vgpr_spill_count: 0
    .wavefront_size: 32
  - .args:
      - .address_space:  global
        .offset:         0
        .size:           8
        .value_kind:     global_buffer
      - .offset:         8
        .size:           8
        .value_kind:     by_value
      - .offset:         16
        .size:           8
        .value_kind:     by_value
      - .offset:         24
        .size:           8
        .value_kind:     by_value
      - .offset:         32
        .size:           8
        .value_kind:     by_value
      - .offset:         40
        .size:           8
        .value_kind:     by_value
      - .offset:         48
        .size:           4
        .value_kind:     hidden_block_count_x
      - .offset:         52
        .size:           4
        .value_kind:     hidden_block_count_y
      - .offset:         56
        .size:           4
        .value_kind:     hidden_block_count_z
      - .offset:         60
        .size:           2
        .value_kind:     hidden_group_size_x
      - .offset:         62
        .size:           2
        .value_kind:     hidden_group_size_y
      - .offset:         64
        .size:           2
        .value_kind:     hidden_group_size_z
      - .offset:         66
        .size:           2
        .value_kind:     hidden_remainder_x
      - .offset:         68
        .size:           2
        .value_kind:     hidden_remainder_y
      - .offset:         70
        .size:           2
        .value_kind:     hidden_remainder_z
      - .offset:         88
        .size:           8
        .value_kind:     hidden_global_offset_x
      - .offset:         96
        .size:           8
        .value_kind:     hidden_global_offset_y
      - .offset:         104
        .size:           8
        .value_kind:     hidden_global_offset_z
      - .offset:         112
        .size:           2
        .value_kind:     hidden_grid_dims
    .group_segment_fixed_size: 0
    .kernarg_segment_align: 8
    .kernarg_segment_size: 304
    .language:       OpenCL C
    .language_version:
      - 2
      - 0
    .max_flat_workgroup_size: 1024
    .name:           _ZN2at6native19triu_indices_kernelIlEEvPT_lllll
    .private_segment_fixed_size: 0
    .sgpr_count:     34
    .sgpr_spill_count: 0
    .symbol:         _ZN2at6native19triu_indices_kernelIlEEvPT_lllll.kd
    .uniform_work_group_size: 1
    .uses_dynamic_stack: false
    .vgpr_count:     18
    .vgpr_spill_count: 0
    .wavefront_size: 32
amdhsa.target:   amdgcn-amd-amdhsa--gfx1250
amdhsa.version:
  - 1
  - 2
...

	.end_amdgpu_metadata
